;; amdgpu-corpus repo=ROCm/rocFFT kind=compiled arch=gfx1100 opt=O3
	.text
	.amdgcn_target "amdgcn-amd-amdhsa--gfx1100"
	.amdhsa_code_object_version 6
	.protected	bluestein_single_back_len1445_dim1_dp_op_CI_CI ; -- Begin function bluestein_single_back_len1445_dim1_dp_op_CI_CI
	.globl	bluestein_single_back_len1445_dim1_dp_op_CI_CI
	.p2align	8
	.type	bluestein_single_back_len1445_dim1_dp_op_CI_CI,@function
bluestein_single_back_len1445_dim1_dp_op_CI_CI: ; @bluestein_single_back_len1445_dim1_dp_op_CI_CI
; %bb.0:
	s_load_b128 s[16:19], s[0:1], 0x28
	v_mul_u32_u24_e32 v1, 0x304, v0
	s_mov_b32 s2, exec_lo
	v_mov_b32_e32 v7, 0
	s_delay_alu instid0(VALU_DEP_2) | instskip(NEXT) | instid1(VALU_DEP_1)
	v_lshrrev_b32_e32 v1, 16, v1
	v_add_nc_u32_e32 v6, s15, v1
	s_waitcnt lgkmcnt(0)
	s_delay_alu instid0(VALU_DEP_1)
	v_cmpx_gt_u64_e64 s[16:17], v[6:7]
	s_cbranch_execz .LBB0_10
; %bb.1:
	s_clause 0x1
	s_load_b128 s[4:7], s[0:1], 0x18
	s_load_b128 s[8:11], s[0:1], 0x0
	v_mul_lo_u16 v1, 0x55, v1
	v_mov_b32_e32 v4, v6
	s_mov_b32 s30, 0x5d8e7cdc
	s_mov_b32 s38, 0x2a9d6da3
	;; [unrolled: 1-line block ×3, first 2 shown]
	v_sub_nc_u16 v40, v0, v1
	scratch_store_b64 off, v[4:5], off offset:64 ; 8-byte Folded Spill
	s_mov_b32 s36, 0xeb564b22
	s_mov_b32 s24, 0x923c349f
	;; [unrolled: 1-line block ×3, first 2 shown]
	v_and_b32_e32 v52, 0xffff, v40
	s_mov_b32 s28, 0x4363dd80
	s_mov_b32 s34, 0xacd6c6b4
	;; [unrolled: 1-line block ×7, first 2 shown]
	s_waitcnt lgkmcnt(0)
	s_load_b128 s[12:15], s[4:5], 0x0
	s_mov_b32 s27, 0xbfe9895b
	s_mov_b32 s29, 0xbfe0d888
	;; [unrolled: 1-line block ×19, first 2 shown]
	s_waitcnt lgkmcnt(0)
	v_mad_u64_u32 v[0:1], null, s14, v6, 0
	v_mad_u64_u32 v[2:3], null, s12, v52, 0
	s_mul_i32 s2, s13, 0x550
	s_mul_hi_u32 s4, s12, 0x550
	s_mul_i32 s3, s12, 0x550
	s_add_i32 s2, s4, s2
	s_mov_b32 s53, 0x3fe9895b
	s_mov_b32 s52, s26
	s_delay_alu instid0(VALU_DEP_1) | instskip(SKIP_2) | instid1(VALU_DEP_1)
	v_mad_u64_u32 v[4:5], null, s15, v6, v[1:2]
	s_mov_b32 s14, 0xc61f0d01
	s_mov_b32 s15, 0xbfd183b1
	v_mov_b32_e32 v1, v4
	v_mad_u64_u32 v[5:6], null, s13, v52, v[3:4]
	v_lshlrev_b32_e32 v36, 4, v52
	s_mov_b32 s12, 0x6ed5f1bb
	s_delay_alu instid0(VALU_DEP_3) | instskip(SKIP_1) | instid1(VALU_DEP_2)
	v_lshlrev_b64 v[0:1], 4, v[0:1]
	s_mov_b32 s13, 0xbfe348c8
	v_add_co_u32 v39, s4, s8, v36
	s_delay_alu instid0(VALU_DEP_4) | instskip(NEXT) | instid1(VALU_DEP_3)
	v_mov_b32_e32 v3, v5
	v_add_co_u32 v0, vcc_lo, s18, v0
	s_delay_alu instid0(VALU_DEP_4) | instskip(NEXT) | instid1(VALU_DEP_3)
	v_add_co_ci_u32_e32 v1, vcc_lo, s19, v1, vcc_lo
	v_lshlrev_b64 v[2:3], 4, v[2:3]
	v_add_co_ci_u32_e64 v37, null, s9, 0, s4
	s_mov_b32 s18, 0x2b2883cd
	s_mov_b32 s19, 0x3fdc86fa
	s_delay_alu instid0(VALU_DEP_2) | instskip(NEXT) | instid1(VALU_DEP_3)
	v_add_co_u32 v4, vcc_lo, v0, v2
	v_add_co_ci_u32_e32 v5, vcc_lo, v1, v3, vcc_lo
	global_load_b128 v[22:25], v36, s[8:9]
	global_load_b128 v[0:3], v[4:5], off
	v_add_co_u32 v8, vcc_lo, v4, s3
	v_add_co_ci_u32_e32 v9, vcc_lo, s2, v5, vcc_lo
	global_load_b128 v[26:29], v36, s[8:9] offset:1360
	global_load_b128 v[4:7], v[8:9], off
	v_add_co_u32 v12, vcc_lo, v8, s3
	v_add_co_ci_u32_e32 v13, vcc_lo, s2, v9, vcc_lo
	global_load_b128 v[18:21], v36, s[8:9] offset:2720
	global_load_b128 v[8:11], v[12:13], off
	s_waitcnt vmcnt(5)
	scratch_store_b128 off, v[22:25], off offset:140 ; 16-byte Folded Spill
	s_waitcnt vmcnt(4)
	v_mul_f64 v[14:15], v[2:3], v[24:25]
	v_mul_f64 v[16:17], v[0:1], v[24:25]
	s_waitcnt vmcnt(3)
	scratch_store_b128 off, v[26:29], off offset:252 ; 16-byte Folded Spill
	s_waitcnt vmcnt(1)
	scratch_store_b128 off, v[18:21], off offset:124 ; 16-byte Folded Spill
	v_fma_f64 v[68:69], v[0:1], v[22:23], v[14:15]
	v_fma_f64 v[70:71], v[2:3], v[22:23], -v[16:17]
	v_mul_f64 v[0:1], v[6:7], v[28:29]
	v_mul_f64 v[2:3], v[4:5], v[28:29]
	s_delay_alu instid0(VALU_DEP_2) | instskip(NEXT) | instid1(VALU_DEP_2)
	v_fma_f64 v[72:73], v[4:5], v[26:27], v[0:1]
	v_fma_f64 v[74:75], v[6:7], v[26:27], -v[2:3]
	s_waitcnt vmcnt(0)
	v_mul_f64 v[0:1], v[10:11], v[20:21]
	v_mul_f64 v[2:3], v[8:9], v[20:21]
	v_add_co_u32 v4, vcc_lo, v12, s3
	v_add_co_ci_u32_e32 v5, vcc_lo, s2, v13, vcc_lo
	s_delay_alu instid0(VALU_DEP_4) | instskip(NEXT) | instid1(VALU_DEP_4)
	v_fma_f64 v[76:77], v[8:9], v[18:19], v[0:1]
	v_fma_f64 v[78:79], v[10:11], v[18:19], -v[2:3]
	global_load_b128 v[10:13], v36, s[8:9] offset:4080
	global_load_b128 v[0:3], v[4:5], off
	v_add_co_u32 v4, vcc_lo, v4, s3
	v_add_co_ci_u32_e32 v5, vcc_lo, s2, v5, vcc_lo
	s_mov_b32 s8, 0x910ea3b9
	s_mov_b32 s9, 0xbfeb34fa
	s_waitcnt vmcnt(1)
	scratch_store_b128 off, v[10:13], off offset:204 ; 16-byte Folded Spill
	s_waitcnt vmcnt(0)
	v_mul_f64 v[6:7], v[2:3], v[12:13]
	v_mul_f64 v[8:9], v[0:1], v[12:13]
	s_delay_alu instid0(VALU_DEP_2) | instskip(SKIP_2) | instid1(VALU_DEP_4)
	v_fma_f64 v[80:81], v[0:1], v[10:11], v[6:7]
	v_add_co_u32 v6, vcc_lo, 0x1000, v39
	v_add_co_ci_u32_e32 v7, vcc_lo, 0, v37, vcc_lo
	v_fma_f64 v[82:83], v[2:3], v[10:11], -v[8:9]
	global_load_b128 v[12:15], v[6:7], off offset:1344
	global_load_b128 v[0:3], v[4:5], off
	v_add_co_u32 v4, vcc_lo, v4, s3
	v_add_co_ci_u32_e32 v5, vcc_lo, s2, v5, vcc_lo
	s_waitcnt vmcnt(1)
	scratch_store_b128 off, v[12:15], off offset:220 ; 16-byte Folded Spill
	s_waitcnt vmcnt(0)
	v_mul_f64 v[8:9], v[2:3], v[14:15]
	v_mul_f64 v[10:11], v[0:1], v[14:15]
	s_delay_alu instid0(VALU_DEP_2) | instskip(NEXT) | instid1(VALU_DEP_2)
	v_fma_f64 v[84:85], v[0:1], v[12:13], v[8:9]
	v_fma_f64 v[86:87], v[2:3], v[12:13], -v[10:11]
	global_load_b128 v[12:15], v[6:7], off offset:2704
	global_load_b128 v[0:3], v[4:5], off
	v_add_co_u32 v4, vcc_lo, v4, s3
	v_add_co_ci_u32_e32 v5, vcc_lo, s2, v5, vcc_lo
	s_waitcnt vmcnt(1)
	scratch_store_b128 off, v[12:15], off offset:236 ; 16-byte Folded Spill
	s_waitcnt vmcnt(0)
	v_mul_f64 v[8:9], v[2:3], v[14:15]
	v_mul_f64 v[10:11], v[0:1], v[14:15]
	s_delay_alu instid0(VALU_DEP_2) | instskip(NEXT) | instid1(VALU_DEP_2)
	v_fma_f64 v[88:89], v[0:1], v[12:13], v[8:9]
	v_fma_f64 v[90:91], v[2:3], v[12:13], -v[10:11]
	global_load_b128 v[10:13], v[6:7], off offset:4064
	global_load_b128 v[0:3], v[4:5], off
	v_add_co_u32 v4, vcc_lo, v4, s3
	v_add_co_ci_u32_e32 v5, vcc_lo, s2, v5, vcc_lo
	s_waitcnt vmcnt(1)
	scratch_store_b128 off, v[10:13], off offset:48 ; 16-byte Folded Spill
	s_waitcnt vmcnt(0)
	v_mul_f64 v[6:7], v[2:3], v[12:13]
	v_mul_f64 v[8:9], v[0:1], v[12:13]
	s_delay_alu instid0(VALU_DEP_2) | instskip(SKIP_2) | instid1(VALU_DEP_4)
	v_fma_f64 v[92:93], v[0:1], v[10:11], v[6:7]
	v_add_co_u32 v6, vcc_lo, 0x2000, v39
	v_add_co_ci_u32_e32 v7, vcc_lo, 0, v37, vcc_lo
	v_fma_f64 v[94:95], v[2:3], v[10:11], -v[8:9]
	global_load_b128 v[12:15], v[6:7], off offset:1328
	global_load_b128 v[0:3], v[4:5], off
	v_add_co_u32 v4, vcc_lo, v4, s3
	v_add_co_ci_u32_e32 v5, vcc_lo, s2, v5, vcc_lo
	s_waitcnt vmcnt(1)
	scratch_store_b128 off, v[12:15], off offset:76 ; 16-byte Folded Spill
	s_waitcnt vmcnt(0)
	v_mul_f64 v[8:9], v[2:3], v[14:15]
	v_mul_f64 v[10:11], v[0:1], v[14:15]
	s_delay_alu instid0(VALU_DEP_2) | instskip(NEXT) | instid1(VALU_DEP_2)
	v_fma_f64 v[96:97], v[0:1], v[12:13], v[8:9]
	v_fma_f64 v[98:99], v[2:3], v[12:13], -v[10:11]
	global_load_b128 v[12:15], v[6:7], off offset:2688
	global_load_b128 v[0:3], v[4:5], off
	s_waitcnt vmcnt(1)
	scratch_store_b128 off, v[12:15], off offset:92 ; 16-byte Folded Spill
	s_waitcnt vmcnt(0)
	v_mul_f64 v[8:9], v[2:3], v[14:15]
	v_mul_f64 v[10:11], v[0:1], v[14:15]
	s_delay_alu instid0(VALU_DEP_2) | instskip(SKIP_2) | instid1(VALU_DEP_4)
	v_fma_f64 v[100:101], v[0:1], v[12:13], v[8:9]
	v_add_co_u32 v8, vcc_lo, v4, s3
	v_add_co_ci_u32_e32 v9, vcc_lo, s2, v5, vcc_lo
	v_fma_f64 v[102:103], v[2:3], v[12:13], -v[10:11]
	global_load_b128 v[10:13], v[6:7], off offset:4048
	global_load_b128 v[0:3], v[8:9], off
	s_waitcnt vmcnt(1)
	scratch_store_b128 off, v[10:13], off offset:108 ; 16-byte Folded Spill
	s_waitcnt vmcnt(0)
	v_mul_f64 v[4:5], v[2:3], v[12:13]
	v_mul_f64 v[6:7], v[0:1], v[12:13]
	v_add_co_u32 v12, vcc_lo, v8, s3
	v_add_co_ci_u32_e32 v13, vcc_lo, s2, v9, vcc_lo
	v_add_co_u32 v16, vcc_lo, 0x3000, v39
	v_add_co_ci_u32_e32 v17, vcc_lo, 0, v37, vcc_lo
	v_fma_f64 v[4:5], v[0:1], v[10:11], v[4:5]
	v_fma_f64 v[6:7], v[2:3], v[10:11], -v[6:7]
	global_load_b128 v[18:21], v[16:17], off offset:1312
	global_load_b128 v[0:3], v[12:13], off
	s_waitcnt vmcnt(1)
	scratch_store_b128 off, v[18:21], off offset:156 ; 16-byte Folded Spill
	s_waitcnt vmcnt(0)
	v_mul_f64 v[8:9], v[2:3], v[20:21]
	v_mul_f64 v[10:11], v[0:1], v[20:21]
	s_delay_alu instid0(VALU_DEP_2) | instskip(NEXT) | instid1(VALU_DEP_2)
	v_fma_f64 v[8:9], v[0:1], v[18:19], v[8:9]
	v_fma_f64 v[10:11], v[2:3], v[18:19], -v[10:11]
	v_add_co_u32 v18, vcc_lo, v12, s3
	v_add_co_ci_u32_e32 v19, vcc_lo, s2, v13, vcc_lo
	global_load_b128 v[20:23], v[16:17], off offset:2672
	global_load_b128 v[0:3], v[18:19], off
	s_waitcnt vmcnt(1)
	scratch_store_b128 off, v[20:23], off offset:172 ; 16-byte Folded Spill
	s_waitcnt vmcnt(0)
	v_mul_f64 v[12:13], v[2:3], v[22:23]
	v_mul_f64 v[14:15], v[0:1], v[22:23]
	s_delay_alu instid0(VALU_DEP_2) | instskip(NEXT) | instid1(VALU_DEP_2)
	v_fma_f64 v[12:13], v[0:1], v[20:21], v[12:13]
	v_fma_f64 v[14:15], v[2:3], v[20:21], -v[14:15]
	v_add_co_u32 v20, vcc_lo, v18, s3
	v_add_co_ci_u32_e32 v21, vcc_lo, s2, v19, vcc_lo
	global_load_b128 v[22:25], v[16:17], off offset:4032
	global_load_b128 v[0:3], v[20:21], off
	s_waitcnt vmcnt(1)
	scratch_store_b128 off, v[22:25], off offset:188 ; 16-byte Folded Spill
	s_waitcnt vmcnt(0)
	v_mul_f64 v[16:17], v[2:3], v[24:25]
	v_mul_f64 v[18:19], v[0:1], v[24:25]
	v_add_co_u32 v24, vcc_lo, v20, s3
	v_add_co_ci_u32_e32 v25, vcc_lo, s2, v21, vcc_lo
	v_add_co_u32 v28, vcc_lo, 0x4000, v39
	v_add_co_ci_u32_e32 v29, vcc_lo, 0, v37, vcc_lo
	v_fma_f64 v[16:17], v[0:1], v[22:23], v[16:17]
	v_fma_f64 v[18:19], v[2:3], v[22:23], -v[18:19]
	global_load_b128 v[30:33], v[28:29], off offset:1296
	global_load_b128 v[0:3], v[24:25], off
	s_waitcnt vmcnt(1)
	scratch_store_b128 off, v[30:33], off offset:268 ; 16-byte Folded Spill
	s_waitcnt vmcnt(0)
	v_mul_f64 v[20:21], v[2:3], v[32:33]
	v_mul_f64 v[22:23], v[0:1], v[32:33]
	s_delay_alu instid0(VALU_DEP_2) | instskip(NEXT) | instid1(VALU_DEP_2)
	v_fma_f64 v[20:21], v[0:1], v[30:31], v[20:21]
	v_fma_f64 v[22:23], v[2:3], v[30:31], -v[22:23]
	v_add_co_u32 v30, vcc_lo, v24, s3
	v_add_co_ci_u32_e32 v31, vcc_lo, s2, v25, vcc_lo
	global_load_b128 v[32:35], v[28:29], off offset:2656
	global_load_b128 v[0:3], v[30:31], off
	s_waitcnt vmcnt(1)
	scratch_store_b128 off, v[32:35], off offset:284 ; 16-byte Folded Spill
	s_waitcnt vmcnt(0)
	v_mul_f64 v[24:25], v[2:3], v[34:35]
	v_mul_f64 v[26:27], v[0:1], v[34:35]
	s_delay_alu instid0(VALU_DEP_2) | instskip(NEXT) | instid1(VALU_DEP_2)
	v_fma_f64 v[24:25], v[0:1], v[32:33], v[24:25]
	v_fma_f64 v[26:27], v[2:3], v[32:33], -v[26:27]
	v_add_co_u32 v32, vcc_lo, v30, s3
	v_add_co_ci_u32_e32 v33, vcc_lo, s2, v31, vcc_lo
	global_load_b128 v[41:44], v[28:29], off offset:4016
	global_load_b128 v[0:3], v[32:33], off
	s_waitcnt vmcnt(0)
	v_mul_f64 v[30:31], v[0:1], v[43:44]
	v_mul_f64 v[28:29], v[2:3], v[43:44]
	s_delay_alu instid0(VALU_DEP_2) | instskip(SKIP_2) | instid1(VALU_DEP_4)
	v_fma_f64 v[30:31], v[2:3], v[41:42], -v[30:31]
	v_add_co_u32 v2, vcc_lo, v32, s3
	v_add_co_ci_u32_e32 v3, vcc_lo, s2, v33, vcc_lo
	v_fma_f64 v[28:29], v[0:1], v[41:42], v[28:29]
	v_add_co_u32 v0, vcc_lo, 0x5000, v39
	v_add_co_ci_u32_e32 v1, vcc_lo, 0, v37, vcc_lo
	scratch_store_b128 off, v[41:44], off offset:300 ; 16-byte Folded Spill
	global_load_b128 v[32:35], v[2:3], off
	s_mov_b32 s2, 0x7faef3
	scratch_store_b64 off, v[0:1], off offset:344 ; 8-byte Folded Spill
	global_load_b128 v[43:46], v[0:1], off offset:1280
	s_mov_b32 s3, 0xbfef7484
	v_mul_lo_u16 v0, v40, 17
	v_cmp_gt_u16_e32 vcc_lo, 34, v40
	s_delay_alu instid0(VALU_DEP_2) | instskip(NEXT) | instid1(VALU_DEP_1)
	v_and_b32_e32 v0, 0xffff, v0
	v_lshlrev_b32_e32 v38, 4, v0
	s_waitcnt vmcnt(0)
	v_mul_f64 v[2:3], v[34:35], v[45:46]
	v_mul_f64 v[41:42], v[32:33], v[45:46]
	scratch_store_b128 off, v[43:46], off offset:316 ; 16-byte Folded Spill
	v_fma_f64 v[32:33], v[32:33], v[43:44], v[2:3]
	v_fma_f64 v[34:35], v[34:35], v[43:44], -v[41:42]
	ds_store_b128 v36, v[68:71]
	ds_store_b128 v36, v[72:75] offset:1360
	ds_store_b128 v36, v[76:79] offset:2720
	;; [unrolled: 1-line block ×16, first 2 shown]
	s_load_b128 s[4:7], s[6:7], 0x0
	s_waitcnt lgkmcnt(0)
	s_waitcnt_vscnt null, 0x0
	s_barrier
	buffer_gl0_inv
	ds_load_b128 v[68:71], v36
	ds_load_b128 v[72:75], v36 offset:1360
	ds_load_b128 v[76:79], v36 offset:2720
	;; [unrolled: 1-line block ×10, first 2 shown]
	s_waitcnt lgkmcnt(9)
	v_add_f64 v[2:3], v[68:69], v[72:73]
	v_add_f64 v[4:5], v[70:71], v[74:75]
	s_waitcnt lgkmcnt(1)
	v_add_f64 v[132:133], v[100:101], -v[104:105]
	s_waitcnt lgkmcnt(0)
	v_add_f64 v[148:149], v[98:99], -v[12:13]
	v_add_f64 v[146:147], v[96:97], -v[10:11]
	;; [unrolled: 1-line block ×3, first 2 shown]
	v_add_f64 v[2:3], v[2:3], v[76:77]
	v_add_f64 v[4:5], v[4:5], v[78:79]
	v_mul_f64 v[140:141], v[148:149], s[28:29]
	v_mul_f64 v[142:143], v[146:147], s[28:29]
	v_mul_f64 v[200:201], v[148:149], s[42:43]
	v_mul_f64 v[202:203], v[146:147], s[42:43]
	v_mul_f64 v[204:205], v[144:145], s[44:45]
	v_add_f64 v[2:3], v[2:3], v[80:81]
	v_add_f64 v[4:5], v[4:5], v[82:83]
	s_delay_alu instid0(VALU_DEP_2) | instskip(NEXT) | instid1(VALU_DEP_2)
	v_add_f64 v[2:3], v[2:3], v[84:85]
	v_add_f64 v[4:5], v[4:5], v[86:87]
	s_delay_alu instid0(VALU_DEP_2) | instskip(NEXT) | instid1(VALU_DEP_2)
	;; [unrolled: 3-line block ×5, first 2 shown]
	v_add_f64 v[6:7], v[2:3], v[100:101]
	v_add_f64 v[8:9], v[4:5], v[102:103]
	;; [unrolled: 1-line block ×4, first 2 shown]
	s_delay_alu instid0(VALU_DEP_4) | instskip(NEXT) | instid1(VALU_DEP_4)
	v_add_f64 v[14:15], v[6:7], v[104:105]
	v_add_f64 v[16:17], v[8:9], v[106:107]
	;; [unrolled: 1-line block ×4, first 2 shown]
	s_delay_alu instid0(VALU_DEP_4) | instskip(NEXT) | instid1(VALU_DEP_4)
	v_add_f64 v[18:19], v[14:15], v[10:11]
	v_add_f64 v[20:21], v[16:17], v[12:13]
	ds_load_b128 v[14:17], v36 offset:14960
	s_waitcnt lgkmcnt(0)
	v_add_f64 v[12:13], v[94:95], v[16:17]
	v_add_f64 v[152:153], v[94:95], -v[16:17]
	v_add_f64 v[10:11], v[92:93], v[14:15]
	v_add_f64 v[150:151], v[92:93], -v[14:15]
	v_add_f64 v[22:23], v[18:19], v[14:15]
	v_add_f64 v[24:25], v[20:21], v[16:17]
	ds_load_b128 v[18:21], v36 offset:16320
	s_waitcnt lgkmcnt(0)
	v_add_f64 v[16:17], v[90:91], v[20:21]
	v_add_f64 v[156:157], v[90:91], -v[20:21]
	v_add_f64 v[14:15], v[88:89], v[18:19]
	v_add_f64 v[154:155], v[88:89], -v[18:19]
	v_mul_f64 v[196:197], v[152:153], s[48:49]
	v_mul_f64 v[198:199], v[150:151], s[48:49]
	v_add_f64 v[26:27], v[22:23], v[18:19]
	v_add_f64 v[24:25], v[24:25], v[20:21]
	ds_load_b128 v[20:23], v36 offset:17680
	s_waitcnt lgkmcnt(0)
	v_add_f64 v[18:19], v[84:85], v[20:21]
	v_add_f64 v[112:113], v[86:87], v[22:23]
	v_add_f64 v[158:159], v[84:85], -v[20:21]
	v_add_f64 v[160:161], v[86:87], -v[22:23]
	v_mul_f64 v[194:195], v[154:155], s[50:51]
	v_add_f64 v[26:27], v[26:27], v[20:21]
	v_add_f64 v[24:25], v[24:25], v[22:23]
	ds_load_b128 v[20:23], v36 offset:19040
	s_waitcnt lgkmcnt(0)
	v_add_f64 v[114:115], v[80:81], v[20:21]
	v_add_f64 v[116:117], v[82:83], v[22:23]
	v_add_f64 v[162:163], v[80:81], -v[20:21]
	v_add_f64 v[164:165], v[82:83], -v[22:23]
	v_add_f64 v[26:27], v[26:27], v[20:21]
	v_add_f64 v[24:25], v[24:25], v[22:23]
	ds_load_b128 v[20:23], v36 offset:20400
	s_waitcnt lgkmcnt(0)
	v_add_f64 v[118:119], v[76:77], v[20:21]
	v_add_f64 v[120:121], v[78:79], v[22:23]
	v_add_f64 v[166:167], v[76:77], -v[20:21]
	v_add_f64 v[168:169], v[78:79], -v[22:23]
	v_add_f64 v[26:27], v[26:27], v[20:21]
	v_add_f64 v[24:25], v[24:25], v[22:23]
	ds_load_b128 v[20:23], v36 offset:21760
	s_waitcnt lgkmcnt(0)
	s_barrier
	buffer_gl0_inv
	v_add_f64 v[28:29], v[74:75], -v[22:23]
	v_add_f64 v[30:31], v[72:73], v[20:21]
	v_add_f64 v[32:33], v[74:75], v[22:23]
	v_add_f64 v[34:35], v[72:73], -v[20:21]
	v_add_f64 v[72:73], v[26:27], v[20:21]
	v_add_f64 v[74:75], v[24:25], v[22:23]
	v_mul_f64 v[20:21], v[28:29], s[30:31]
	v_mul_f64 v[22:23], v[28:29], s[38:39]
	;; [unrolled: 1-line block ×13, first 2 shown]
	v_fma_f64 v[47:48], v[30:31], s[22:23], -v[20:21]
	v_fma_f64 v[20:21], v[30:31], s[22:23], v[20:21]
	v_fma_f64 v[49:50], v[30:31], s[20:21], -v[22:23]
	v_fma_f64 v[22:23], v[30:31], s[20:21], v[22:23]
	;; [unrolled: 2-line block ×3, first 2 shown]
	v_fma_f64 v[96:97], v[30:31], s[16:17], -v[26:27]
	v_fma_f64 v[110:111], v[30:31], s[2:3], -v[28:29]
	v_fma_f64 v[122:123], v[30:31], s[2:3], v[28:29]
	v_mul_f64 v[28:29], v[34:35], s[30:31]
	v_fma_f64 v[26:27], v[30:31], s[16:17], v[26:27]
	v_fma_f64 v[100:101], v[30:31], s[14:15], -v[41:42]
	v_fma_f64 v[41:42], v[30:31], s[14:15], v[41:42]
	v_fma_f64 v[102:103], v[30:31], s[12:13], -v[43:44]
	;; [unrolled: 2-line block ×3, first 2 shown]
	v_fma_f64 v[45:46], v[30:31], s[8:9], v[45:46]
	v_mul_f64 v[30:31], v[34:35], s[38:39]
	v_mul_f64 v[34:35], v[34:35], s[34:35]
	v_fma_f64 v[92:93], v[32:33], s[18:19], v[76:77]
	v_fma_f64 v[98:99], v[32:33], s[18:19], -v[76:77]
	v_fma_f64 v[104:105], v[32:33], s[16:17], v[78:79]
	v_fma_f64 v[106:107], v[32:33], s[16:17], -v[78:79]
	;; [unrolled: 2-line block ×5, first 2 shown]
	v_add_f64 v[76:77], v[68:69], v[20:21]
	v_mul_f64 v[20:21], v[168:169], s[38:39]
	v_add_f64 v[82:83], v[68:69], v[49:50]
	v_add_f64 v[94:95], v[68:69], v[88:89]
	v_mul_f64 v[49:50], v[164:165], s[26:27]
	v_add_f64 v[176:177], v[68:69], v[110:111]
	v_add_f64 v[172:173], v[68:69], v[122:123]
	v_fma_f64 v[86:87], v[32:33], s[22:23], v[28:29]
	v_fma_f64 v[28:29], v[32:33], s[22:23], -v[28:29]
	v_mul_f64 v[122:123], v[164:165], s[40:41]
	v_mul_f64 v[110:111], v[156:157], s[50:51]
	v_add_f64 v[192:193], v[68:69], v[102:103]
	v_add_f64 v[188:189], v[68:69], v[43:44]
	;; [unrolled: 1-line block ×4, first 2 shown]
	v_fma_f64 v[90:91], v[32:33], s[20:21], v[30:31]
	v_fma_f64 v[30:31], v[32:33], s[20:21], -v[30:31]
	v_fma_f64 v[138:139], v[32:33], s[2:3], v[34:35]
	v_fma_f64 v[32:33], v[32:33], s[2:3], -v[34:35]
	v_add_f64 v[34:35], v[68:69], v[47:48]
	v_add_f64 v[88:89], v[70:71], v[98:99]
	;; [unrolled: 1-line block ×5, first 2 shown]
	v_mul_f64 v[126:127], v[160:161], s[36:37]
	v_add_f64 v[190:191], v[70:71], v[128:129]
	v_mul_f64 v[128:129], v[158:159], s[36:37]
	v_add_f64 v[186:187], v[70:71], v[130:131]
	;; [unrolled: 2-line block ×5, first 2 shown]
	v_mul_f64 v[45:46], v[166:167], s[36:37]
	v_mul_f64 v[102:103], v[160:161], s[34:35]
	;; [unrolled: 1-line block ×3, first 2 shown]
	v_add_f64 v[47:48], v[70:71], v[86:87]
	v_add_f64 v[86:87], v[68:69], v[22:23]
	v_fma_f64 v[22:23], v[118:119], s[20:21], -v[20:21]
	v_add_f64 v[78:79], v[70:71], v[28:29]
	v_add_f64 v[28:29], v[70:71], v[106:107]
	;; [unrolled: 1-line block ×3, first 2 shown]
	v_fma_f64 v[41:42], v[114:115], s[18:19], -v[122:123]
	v_fma_f64 v[20:21], v[118:119], s[20:21], v[20:21]
	v_add_f64 v[80:81], v[70:71], v[90:91]
	v_add_f64 v[90:91], v[68:69], v[24:25]
	;; [unrolled: 1-line block ×4, first 2 shown]
	v_mul_f64 v[124:125], v[162:163], s[40:41]
	v_add_f64 v[174:175], v[70:71], v[138:139]
	v_mul_f64 v[138:139], v[150:151], s[26:27]
	v_add_f64 v[84:85], v[70:71], v[30:31]
	v_add_f64 v[30:31], v[68:69], v[26:27]
	;; [unrolled: 1-line block ×3, first 2 shown]
	v_mul_f64 v[100:101], v[162:163], s[26:27]
	v_add_f64 v[32:33], v[22:23], v[34:35]
	v_mul_f64 v[22:23], v[166:167], s[38:39]
	v_add_f64 v[20:21], v[20:21], v[76:77]
	s_delay_alu instid0(VALU_DEP_3) | instskip(NEXT) | instid1(VALU_DEP_3)
	v_add_f64 v[32:33], v[41:42], v[32:33]
	v_fma_f64 v[34:35], v[120:121], s[20:21], v[22:23]
	v_fma_f64 v[41:42], v[116:117], s[18:19], v[124:125]
	v_fma_f64 v[22:23], v[120:121], s[20:21], -v[22:23]
	s_delay_alu instid0(VALU_DEP_3) | instskip(SKIP_2) | instid1(VALU_DEP_4)
	v_add_f64 v[34:35], v[34:35], v[47:48]
	v_fma_f64 v[47:48], v[120:121], s[16:17], v[45:46]
	v_fma_f64 v[45:46], v[120:121], s[16:17], -v[45:46]
	v_add_f64 v[22:23], v[22:23], v[78:79]
	s_delay_alu instid0(VALU_DEP_4) | instskip(SKIP_4) | instid1(VALU_DEP_4)
	v_add_f64 v[34:35], v[41:42], v[34:35]
	v_fma_f64 v[41:42], v[18:19], s[16:17], -v[126:127]
	v_add_f64 v[47:48], v[47:48], v[80:81]
	v_fma_f64 v[80:81], v[114:115], s[12:13], -v[49:50]
	v_add_f64 v[45:46], v[45:46], v[84:85]
	v_add_f64 v[32:33], v[41:42], v[32:33]
	v_fma_f64 v[41:42], v[112:113], s[16:17], v[128:129]
	s_delay_alu instid0(VALU_DEP_1) | instskip(SKIP_1) | instid1(VALU_DEP_1)
	v_add_f64 v[34:35], v[41:42], v[34:35]
	v_fma_f64 v[41:42], v[14:15], s[14:15], -v[130:131]
	v_add_f64 v[32:33], v[41:42], v[32:33]
	v_fma_f64 v[41:42], v[16:17], s[14:15], v[134:135]
	s_delay_alu instid0(VALU_DEP_1) | instskip(SKIP_1) | instid1(VALU_DEP_1)
	v_add_f64 v[34:35], v[41:42], v[34:35]
	v_fma_f64 v[41:42], v[10:11], s[12:13], -v[136:137]
	;; [unrolled: 5-line block ×3, first 2 shown]
	v_add_f64 v[41:42], v[41:42], v[32:33]
	v_fma_f64 v[32:33], v[8:9], s[8:9], v[142:143]
	s_delay_alu instid0(VALU_DEP_1) | instskip(SKIP_1) | instid1(VALU_DEP_1)
	v_add_f64 v[43:44], v[32:33], v[34:35]
	v_mul_f64 v[32:33], v[144:145], s[34:35]
	v_fma_f64 v[34:35], v[2:3], s[2:3], -v[32:33]
	s_delay_alu instid0(VALU_DEP_1) | instskip(SKIP_1) | instid1(VALU_DEP_1)
	v_add_f64 v[68:69], v[34:35], v[41:42]
	v_mul_f64 v[34:35], v[132:133], s[34:35]
	v_fma_f64 v[41:42], v[4:5], s[2:3], v[34:35]
	s_delay_alu instid0(VALU_DEP_1) | instskip(SKIP_1) | instid1(VALU_DEP_1)
	v_add_f64 v[70:71], v[41:42], v[43:44]
	v_mul_f64 v[41:42], v[168:169], s[36:37]
	v_fma_f64 v[43:44], v[118:119], s[16:17], -v[41:42]
	v_fma_f64 v[41:42], v[118:119], s[16:17], v[41:42]
	s_delay_alu instid0(VALU_DEP_2) | instskip(NEXT) | instid1(VALU_DEP_2)
	v_add_f64 v[43:44], v[43:44], v[82:83]
	v_add_f64 v[41:42], v[41:42], v[86:87]
	s_delay_alu instid0(VALU_DEP_2) | instskip(SKIP_1) | instid1(VALU_DEP_1)
	v_add_f64 v[43:44], v[80:81], v[43:44]
	v_fma_f64 v[80:81], v[116:117], s[12:13], v[100:101]
	v_add_f64 v[47:48], v[80:81], v[47:48]
	v_fma_f64 v[80:81], v[18:19], s[2:3], -v[102:103]
	s_delay_alu instid0(VALU_DEP_1) | instskip(SKIP_1) | instid1(VALU_DEP_1)
	v_add_f64 v[43:44], v[80:81], v[43:44]
	v_fma_f64 v[80:81], v[112:113], s[2:3], v[108:109]
	v_add_f64 v[47:48], v[80:81], v[47:48]
	v_fma_f64 v[80:81], v[14:15], s[8:9], -v[110:111]
	s_delay_alu instid0(VALU_DEP_1) | instskip(SKIP_1) | instid1(VALU_DEP_1)
	;; [unrolled: 5-line block ×5, first 2 shown]
	v_add_f64 v[80:81], v[80:81], v[43:44]
	v_mul_f64 v[43:44], v[132:133], s[44:45]
	v_fma_f64 v[82:83], v[4:5], s[22:23], v[43:44]
	v_fma_f64 v[43:44], v[4:5], s[22:23], -v[43:44]
	s_delay_alu instid0(VALU_DEP_2) | instskip(SKIP_2) | instid1(VALU_DEP_2)
	v_add_f64 v[82:83], v[82:83], v[47:48]
	v_fma_f64 v[47:48], v[114:115], s[12:13], v[49:50]
	v_mul_f64 v[49:50], v[164:165], s[46:47]
	v_add_f64 v[41:42], v[47:48], v[41:42]
	v_fma_f64 v[47:48], v[116:117], s[12:13], -v[100:101]
	v_mul_f64 v[100:101], v[162:163], s[46:47]
	s_mov_b32 s47, 0x3fe58eea
	s_mov_b32 s46, s38
	s_delay_alu instid0(VALU_DEP_2) | instskip(SKIP_2) | instid1(VALU_DEP_2)
	v_add_f64 v[45:46], v[47:48], v[45:46]
	v_fma_f64 v[47:48], v[18:19], s[2:3], v[102:103]
	v_mul_f64 v[102:103], v[160:161], s[48:49]
	v_add_f64 v[41:42], v[47:48], v[41:42]
	v_fma_f64 v[47:48], v[112:113], s[2:3], -v[108:109]
	v_mul_f64 v[108:109], v[158:159], s[48:49]
	s_delay_alu instid0(VALU_DEP_2) | instskip(SKIP_2) | instid1(VALU_DEP_2)
	v_add_f64 v[45:46], v[47:48], v[45:46]
	v_fma_f64 v[47:48], v[14:15], s[8:9], v[110:111]
	v_mul_f64 v[110:111], v[156:157], s[46:47]
	v_add_f64 v[41:42], v[47:48], v[41:42]
	v_fma_f64 v[47:48], v[16:17], s[8:9], -v[194:195]
	v_mul_f64 v[194:195], v[154:155], s[46:47]
	;; [unrolled: 7-line block ×4, first 2 shown]
	s_delay_alu instid0(VALU_DEP_2) | instskip(SKIP_2) | instid1(VALU_DEP_3)
	v_add_f64 v[45:46], v[47:48], v[45:46]
	v_fma_f64 v[47:48], v[2:3], s[22:23], v[204:205]
	v_mul_f64 v[204:205], v[144:145], s[28:29]
	v_add_f64 v[86:87], v[43:44], v[45:46]
	s_delay_alu instid0(VALU_DEP_3) | instskip(SKIP_2) | instid1(VALU_DEP_2)
	v_add_f64 v[84:85], v[47:48], v[41:42]
	v_mul_f64 v[41:42], v[168:169], s[26:27]
	v_mul_f64 v[45:46], v[166:167], s[26:27]
	v_fma_f64 v[43:44], v[118:119], s[12:13], -v[41:42]
	s_delay_alu instid0(VALU_DEP_2) | instskip(SKIP_2) | instid1(VALU_DEP_4)
	v_fma_f64 v[47:48], v[120:121], s[12:13], v[45:46]
	v_fma_f64 v[41:42], v[118:119], s[12:13], v[41:42]
	v_fma_f64 v[45:46], v[120:121], s[12:13], -v[45:46]
	v_add_f64 v[43:44], v[43:44], v[94:95]
	s_delay_alu instid0(VALU_DEP_4) | instskip(SKIP_3) | instid1(VALU_DEP_3)
	v_add_f64 v[47:48], v[47:48], v[92:93]
	v_fma_f64 v[92:93], v[114:115], s[2:3], -v[49:50]
	v_add_f64 v[41:42], v[41:42], v[90:91]
	v_add_f64 v[45:46], v[45:46], v[88:89]
	;; [unrolled: 1-line block ×3, first 2 shown]
	v_fma_f64 v[92:93], v[116:117], s[2:3], v[100:101]
	s_delay_alu instid0(VALU_DEP_1) | instskip(SKIP_1) | instid1(VALU_DEP_1)
	v_add_f64 v[47:48], v[92:93], v[47:48]
	v_fma_f64 v[92:93], v[18:19], s[14:15], -v[102:103]
	v_add_f64 v[43:44], v[92:93], v[43:44]
	v_fma_f64 v[92:93], v[112:113], s[14:15], v[108:109]
	s_delay_alu instid0(VALU_DEP_1) | instskip(SKIP_1) | instid1(VALU_DEP_1)
	v_add_f64 v[47:48], v[92:93], v[47:48]
	v_fma_f64 v[92:93], v[14:15], s[20:21], -v[110:111]
	v_add_f64 v[43:44], v[92:93], v[43:44]
	;; [unrolled: 5-line block ×5, first 2 shown]
	v_mul_f64 v[43:44], v[132:133], s[28:29]
	s_delay_alu instid0(VALU_DEP_1) | instskip(SKIP_1) | instid1(VALU_DEP_2)
	v_fma_f64 v[94:95], v[4:5], s[8:9], v[43:44]
	v_fma_f64 v[43:44], v[4:5], s[8:9], -v[43:44]
	v_add_f64 v[94:95], v[94:95], v[47:48]
	v_fma_f64 v[47:48], v[114:115], s[2:3], v[49:50]
	v_mul_f64 v[49:50], v[164:165], s[48:49]
	s_delay_alu instid0(VALU_DEP_2) | instskip(SKIP_1) | instid1(VALU_DEP_1)
	v_add_f64 v[41:42], v[47:48], v[41:42]
	v_fma_f64 v[47:48], v[116:117], s[2:3], -v[100:101]
	v_add_f64 v[45:46], v[47:48], v[45:46]
	v_fma_f64 v[47:48], v[18:19], s[14:15], v[102:103]
	s_delay_alu instid0(VALU_DEP_1) | instskip(SKIP_2) | instid1(VALU_DEP_2)
	v_add_f64 v[41:42], v[47:48], v[41:42]
	v_fma_f64 v[47:48], v[112:113], s[14:15], -v[108:109]
	v_mul_f64 v[108:109], v[158:159], s[44:45]
	v_add_f64 v[45:46], v[47:48], v[45:46]
	v_fma_f64 v[47:48], v[14:15], s[20:21], v[110:111]
	v_mul_f64 v[110:111], v[156:157], s[40:41]
	s_delay_alu instid0(VALU_DEP_2) | instskip(SKIP_2) | instid1(VALU_DEP_2)
	v_add_f64 v[41:42], v[47:48], v[41:42]
	v_fma_f64 v[47:48], v[16:17], s[20:21], -v[194:195]
	v_mul_f64 v[194:195], v[154:155], s[40:41]
	v_add_f64 v[45:46], v[47:48], v[45:46]
	v_fma_f64 v[47:48], v[10:11], s[22:23], v[196:197]
	v_mul_f64 v[196:197], v[152:153], s[28:29]
	s_delay_alu instid0(VALU_DEP_2) | instskip(SKIP_2) | instid1(VALU_DEP_2)
	;; [unrolled: 7-line block ×3, first 2 shown]
	v_add_f64 v[41:42], v[47:48], v[41:42]
	v_fma_f64 v[47:48], v[8:9], s[16:17], -v[202:203]
	v_mul_f64 v[202:203], v[146:147], s[52:53]
	v_add_f64 v[45:46], v[47:48], v[45:46]
	v_fma_f64 v[47:48], v[2:3], s[8:9], v[204:205]
	v_mul_f64 v[204:205], v[144:145], s[46:47]
	s_delay_alu instid0(VALU_DEP_3) | instskip(NEXT) | instid1(VALU_DEP_3)
	v_add_f64 v[90:91], v[43:44], v[45:46]
	v_add_f64 v[88:89], v[47:48], v[41:42]
	v_mul_f64 v[41:42], v[168:169], s[34:35]
	v_mul_f64 v[45:46], v[166:167], s[34:35]
	s_delay_alu instid0(VALU_DEP_2) | instskip(NEXT) | instid1(VALU_DEP_2)
	v_fma_f64 v[43:44], v[118:119], s[2:3], -v[41:42]
	v_fma_f64 v[47:48], v[120:121], s[2:3], v[45:46]
	v_fma_f64 v[41:42], v[118:119], s[2:3], v[41:42]
	s_delay_alu instid0(VALU_DEP_3) | instskip(NEXT) | instid1(VALU_DEP_3)
	v_add_f64 v[43:44], v[43:44], v[98:99]
	v_add_f64 v[47:48], v[47:48], v[96:97]
	v_fma_f64 v[96:97], v[114:115], s[14:15], -v[49:50]
	s_delay_alu instid0(VALU_DEP_4) | instskip(SKIP_1) | instid1(VALU_DEP_3)
	v_add_f64 v[30:31], v[41:42], v[30:31]
	v_fma_f64 v[41:42], v[120:121], s[2:3], -v[45:46]
	v_add_f64 v[43:44], v[96:97], v[43:44]
	v_mul_f64 v[96:97], v[162:163], s[48:49]
	s_delay_alu instid0(VALU_DEP_3) | instskip(SKIP_1) | instid1(VALU_DEP_3)
	v_add_f64 v[28:29], v[41:42], v[28:29]
	v_fma_f64 v[41:42], v[114:115], s[14:15], v[49:50]
	v_fma_f64 v[98:99], v[116:117], s[14:15], v[96:97]
	s_delay_alu instid0(VALU_DEP_2) | instskip(SKIP_1) | instid1(VALU_DEP_3)
	v_add_f64 v[30:31], v[41:42], v[30:31]
	v_fma_f64 v[41:42], v[116:117], s[14:15], -v[96:97]
	v_add_f64 v[47:48], v[98:99], v[47:48]
	v_mul_f64 v[98:99], v[160:161], s[44:45]
	s_delay_alu instid0(VALU_DEP_3) | instskip(NEXT) | instid1(VALU_DEP_2)
	v_add_f64 v[28:29], v[41:42], v[28:29]
	v_fma_f64 v[100:101], v[18:19], s[22:23], -v[98:99]
	v_fma_f64 v[41:42], v[18:19], s[22:23], v[98:99]
	s_delay_alu instid0(VALU_DEP_2) | instskip(SKIP_1) | instid1(VALU_DEP_3)
	v_add_f64 v[43:44], v[100:101], v[43:44]
	v_fma_f64 v[100:101], v[112:113], s[22:23], v[108:109]
	v_add_f64 v[30:31], v[41:42], v[30:31]
	v_fma_f64 v[41:42], v[112:113], s[22:23], -v[108:109]
	s_delay_alu instid0(VALU_DEP_3) | instskip(SKIP_1) | instid1(VALU_DEP_3)
	v_add_f64 v[47:48], v[100:101], v[47:48]
	v_fma_f64 v[100:101], v[14:15], s[18:19], -v[110:111]
	v_add_f64 v[28:29], v[41:42], v[28:29]
	v_fma_f64 v[41:42], v[14:15], s[18:19], v[110:111]
	s_delay_alu instid0(VALU_DEP_3) | instskip(SKIP_1) | instid1(VALU_DEP_3)
	v_add_f64 v[43:44], v[100:101], v[43:44]
	v_fma_f64 v[100:101], v[16:17], s[18:19], v[194:195]
	v_add_f64 v[30:31], v[41:42], v[30:31]
	v_fma_f64 v[41:42], v[16:17], s[18:19], -v[194:195]
	v_mul_f64 v[194:195], v[154:155], s[34:35]
	s_delay_alu instid0(VALU_DEP_4) | instskip(SKIP_1) | instid1(VALU_DEP_4)
	v_add_f64 v[47:48], v[100:101], v[47:48]
	v_fma_f64 v[100:101], v[10:11], s[8:9], -v[196:197]
	v_add_f64 v[28:29], v[41:42], v[28:29]
	v_fma_f64 v[41:42], v[10:11], s[8:9], v[196:197]
	s_delay_alu instid0(VALU_DEP_3) | instskip(SKIP_1) | instid1(VALU_DEP_3)
	v_add_f64 v[43:44], v[100:101], v[43:44]
	v_fma_f64 v[100:101], v[12:13], s[8:9], v[198:199]
	v_add_f64 v[30:31], v[41:42], v[30:31]
	v_fma_f64 v[41:42], v[12:13], s[8:9], -v[198:199]
	s_delay_alu instid0(VALU_DEP_3) | instskip(SKIP_1) | instid1(VALU_DEP_3)
	v_add_f64 v[47:48], v[100:101], v[47:48]
	v_fma_f64 v[100:101], v[6:7], s[12:13], -v[200:201]
	v_add_f64 v[28:29], v[41:42], v[28:29]
	v_fma_f64 v[41:42], v[6:7], s[12:13], v[200:201]
	v_mul_f64 v[200:201], v[148:149], s[30:31]
	s_delay_alu instid0(VALU_DEP_4) | instskip(SKIP_1) | instid1(VALU_DEP_4)
	v_add_f64 v[43:44], v[100:101], v[43:44]
	v_fma_f64 v[100:101], v[8:9], s[12:13], v[202:203]
	v_add_f64 v[30:31], v[41:42], v[30:31]
	v_fma_f64 v[41:42], v[8:9], s[12:13], -v[202:203]
	v_mul_f64 v[202:203], v[146:147], s[30:31]
	s_delay_alu instid0(VALU_DEP_4) | instskip(SKIP_1) | instid1(VALU_DEP_4)
	v_add_f64 v[47:48], v[100:101], v[47:48]
	v_fma_f64 v[100:101], v[2:3], s[20:21], -v[204:205]
	v_add_f64 v[28:29], v[41:42], v[28:29]
	v_fma_f64 v[41:42], v[2:3], s[20:21], v[204:205]
	v_mul_f64 v[204:205], v[144:145], s[26:27]
	s_delay_alu instid0(VALU_DEP_4) | instskip(SKIP_1) | instid1(VALU_DEP_4)
	v_add_f64 v[100:101], v[100:101], v[43:44]
	v_mul_f64 v[43:44], v[132:133], s[46:47]
	v_add_f64 v[96:97], v[41:42], v[30:31]
	s_delay_alu instid0(VALU_DEP_2) | instskip(SKIP_1) | instid1(VALU_DEP_2)
	v_fma_f64 v[102:103], v[4:5], s[20:21], v[43:44]
	v_fma_f64 v[43:44], v[4:5], s[20:21], -v[43:44]
	v_add_f64 v[102:103], v[102:103], v[47:48]
	s_delay_alu instid0(VALU_DEP_2) | instskip(SKIP_1) | instid1(VALU_DEP_1)
	v_add_f64 v[98:99], v[43:44], v[28:29]
	v_mul_f64 v[28:29], v[168:169], s[50:51]
	v_fma_f64 v[30:31], v[118:119], s[8:9], -v[28:29]
	s_delay_alu instid0(VALU_DEP_1) | instskip(SKIP_1) | instid1(VALU_DEP_1)
	v_add_f64 v[26:27], v[30:31], v[26:27]
	v_mul_f64 v[30:31], v[166:167], s[50:51]
	v_fma_f64 v[41:42], v[120:121], s[8:9], v[30:31]
	s_delay_alu instid0(VALU_DEP_1) | instskip(SKIP_1) | instid1(VALU_DEP_1)
	v_add_f64 v[24:25], v[41:42], v[24:25]
	v_mul_f64 v[41:42], v[164:165], s[46:47]
	v_fma_f64 v[43:44], v[114:115], s[20:21], -v[41:42]
	s_delay_alu instid0(VALU_DEP_1) | instskip(SKIP_1) | instid1(VALU_DEP_1)
	v_add_f64 v[26:27], v[43:44], v[26:27]
	v_mul_f64 v[43:44], v[162:163], s[46:47]
	v_fma_f64 v[45:46], v[116:117], s[20:21], v[43:44]
	s_delay_alu instid0(VALU_DEP_1) | instskip(SKIP_1) | instid1(VALU_DEP_1)
	v_add_f64 v[24:25], v[45:46], v[24:25]
	v_mul_f64 v[45:46], v[160:161], s[40:41]
	v_fma_f64 v[47:48], v[18:19], s[18:19], -v[45:46]
	s_delay_alu instid0(VALU_DEP_1) | instskip(SKIP_3) | instid1(SALU_CYCLE_1)
	v_add_f64 v[26:27], v[47:48], v[26:27]
	v_mul_f64 v[47:48], v[158:159], s[40:41]
	s_mov_b32 s41, 0x3fefdd0d
	s_mov_b32 s40, s36
	v_mul_f64 v[196:197], v[152:153], s[40:41]
	v_mul_f64 v[198:199], v[150:151], s[40:41]
	s_delay_alu instid0(VALU_DEP_3) | instskip(NEXT) | instid1(VALU_DEP_1)
	v_fma_f64 v[49:50], v[112:113], s[18:19], v[47:48]
	v_add_f64 v[24:25], v[49:50], v[24:25]
	v_mul_f64 v[49:50], v[156:157], s[34:35]
	s_delay_alu instid0(VALU_DEP_1) | instskip(NEXT) | instid1(VALU_DEP_1)
	v_fma_f64 v[108:109], v[14:15], s[2:3], -v[49:50]
	v_add_f64 v[26:27], v[108:109], v[26:27]
	v_fma_f64 v[108:109], v[16:17], s[2:3], v[194:195]
	s_delay_alu instid0(VALU_DEP_1) | instskip(SKIP_1) | instid1(VALU_DEP_1)
	v_add_f64 v[24:25], v[108:109], v[24:25]
	v_fma_f64 v[108:109], v[10:11], s[16:17], -v[196:197]
	v_add_f64 v[26:27], v[108:109], v[26:27]
	v_fma_f64 v[108:109], v[12:13], s[16:17], v[198:199]
	s_delay_alu instid0(VALU_DEP_1) | instskip(SKIP_1) | instid1(VALU_DEP_1)
	v_add_f64 v[24:25], v[108:109], v[24:25]
	;; [unrolled: 5-line block ×3, first 2 shown]
	v_fma_f64 v[108:109], v[2:3], s[12:13], -v[204:205]
	v_add_f64 v[108:109], v[108:109], v[26:27]
	v_mul_f64 v[26:27], v[132:133], s[26:27]
	s_delay_alu instid0(VALU_DEP_1) | instskip(SKIP_1) | instid1(VALU_DEP_2)
	v_fma_f64 v[110:111], v[4:5], s[12:13], v[26:27]
	v_fma_f64 v[26:27], v[4:5], s[12:13], -v[26:27]
	v_add_f64 v[110:111], v[110:111], v[24:25]
	v_fma_f64 v[24:25], v[118:119], s[8:9], v[28:29]
	v_fma_f64 v[28:29], v[120:121], s[8:9], -v[30:31]
	v_fma_f64 v[30:31], v[114:115], s[20:21], v[41:42]
	v_mul_f64 v[41:42], v[164:165], s[30:31]
	s_delay_alu instid0(VALU_DEP_4) | instskip(NEXT) | instid1(VALU_DEP_4)
	v_add_f64 v[24:25], v[24:25], v[106:107]
	v_add_f64 v[28:29], v[28:29], v[104:105]
	s_delay_alu instid0(VALU_DEP_2) | instskip(SKIP_3) | instid1(VALU_DEP_3)
	v_add_f64 v[24:25], v[30:31], v[24:25]
	v_fma_f64 v[30:31], v[116:117], s[20:21], -v[43:44]
	v_fma_f64 v[43:44], v[114:115], s[22:23], -v[41:42]
	v_fma_f64 v[41:42], v[114:115], s[22:23], v[41:42]
	v_add_f64 v[28:29], v[30:31], v[28:29]
	v_fma_f64 v[30:31], v[18:19], s[18:19], v[45:46]
	s_delay_alu instid0(VALU_DEP_1) | instskip(SKIP_1) | instid1(VALU_DEP_1)
	v_add_f64 v[24:25], v[30:31], v[24:25]
	v_fma_f64 v[30:31], v[112:113], s[18:19], -v[47:48]
	v_add_f64 v[28:29], v[30:31], v[28:29]
	v_fma_f64 v[30:31], v[14:15], s[2:3], v[49:50]
	s_delay_alu instid0(VALU_DEP_1) | instskip(SKIP_1) | instid1(VALU_DEP_1)
	v_add_f64 v[24:25], v[30:31], v[24:25]
	v_fma_f64 v[30:31], v[16:17], s[2:3], -v[194:195]
	;; [unrolled: 5-line block ×4, first 2 shown]
	v_add_f64 v[28:29], v[30:31], v[28:29]
	v_fma_f64 v[30:31], v[2:3], s[12:13], v[204:205]
	s_delay_alu instid0(VALU_DEP_2) | instskip(SKIP_1) | instid1(VALU_DEP_3)
	v_add_f64 v[106:107], v[26:27], v[28:29]
	v_mul_f64 v[28:29], v[168:169], s[48:49]
	v_add_f64 v[104:105], v[30:31], v[24:25]
	v_mul_f64 v[30:31], v[166:167], s[48:49]
	s_delay_alu instid0(VALU_DEP_3) | instskip(SKIP_1) | instid1(VALU_DEP_3)
	v_fma_f64 v[24:25], v[118:119], s[14:15], -v[28:29]
	v_fma_f64 v[28:29], v[118:119], s[14:15], v[28:29]
	v_fma_f64 v[26:27], v[120:121], s[14:15], v[30:31]
	v_fma_f64 v[30:31], v[120:121], s[14:15], -v[30:31]
	s_delay_alu instid0(VALU_DEP_4) | instskip(NEXT) | instid1(VALU_DEP_4)
	v_add_f64 v[24:25], v[24:25], v[192:193]
	v_add_f64 v[28:29], v[28:29], v[188:189]
	s_delay_alu instid0(VALU_DEP_4) | instskip(NEXT) | instid1(VALU_DEP_4)
	v_add_f64 v[26:27], v[26:27], v[190:191]
	v_add_f64 v[30:31], v[30:31], v[186:187]
	v_mul_f64 v[186:187], v[162:163], s[36:37]
	v_mul_f64 v[188:189], v[160:161], s[52:53]
	v_add_f64 v[24:25], v[43:44], v[24:25]
	v_mul_f64 v[43:44], v[162:163], s[30:31]
	v_add_f64 v[28:29], v[41:42], v[28:29]
	v_mul_f64 v[162:163], v[162:163], s[28:29]
	s_delay_alu instid0(VALU_DEP_3) | instskip(SKIP_1) | instid1(VALU_DEP_2)
	v_fma_f64 v[45:46], v[116:117], s[22:23], v[43:44]
	v_fma_f64 v[41:42], v[116:117], s[22:23], -v[43:44]
	v_add_f64 v[26:27], v[45:46], v[26:27]
	v_mul_f64 v[45:46], v[160:161], s[28:29]
	s_delay_alu instid0(VALU_DEP_3) | instskip(SKIP_1) | instid1(VALU_DEP_3)
	v_add_f64 v[30:31], v[41:42], v[30:31]
	v_mul_f64 v[160:161], v[160:161], s[46:47]
	v_fma_f64 v[47:48], v[18:19], s[8:9], -v[45:46]
	v_fma_f64 v[41:42], v[18:19], s[8:9], v[45:46]
	v_mul_f64 v[45:46], v[166:167], s[42:43]
	s_delay_alu instid0(VALU_DEP_3) | instskip(SKIP_1) | instid1(VALU_DEP_4)
	v_add_f64 v[24:25], v[47:48], v[24:25]
	v_mul_f64 v[47:48], v[158:159], s[28:29]
	v_add_f64 v[28:29], v[41:42], v[28:29]
	s_delay_alu instid0(VALU_DEP_2) | instskip(SKIP_3) | instid1(VALU_DEP_4)
	v_fma_f64 v[49:50], v[112:113], s[8:9], v[47:48]
	v_fma_f64 v[41:42], v[112:113], s[8:9], -v[47:48]
	v_fma_f64 v[47:48], v[120:121], s[18:19], v[45:46]
	v_fma_f64 v[45:46], v[120:121], s[18:19], -v[45:46]
	v_add_f64 v[26:27], v[49:50], v[26:27]
	v_mul_f64 v[49:50], v[156:157], s[40:41]
	v_add_f64 v[30:31], v[41:42], v[30:31]
	v_add_f64 v[47:48], v[47:48], v[182:183]
	;; [unrolled: 1-line block ×3, first 2 shown]
	s_delay_alu instid0(VALU_DEP_4) | instskip(SKIP_2) | instid1(VALU_DEP_3)
	v_fma_f64 v[190:191], v[14:15], s[16:17], -v[49:50]
	v_fma_f64 v[41:42], v[14:15], s[16:17], v[49:50]
	v_mul_f64 v[49:50], v[164:165], s[36:37]
	v_add_f64 v[24:25], v[190:191], v[24:25]
	v_mul_f64 v[190:191], v[154:155], s[40:41]
	s_delay_alu instid0(VALU_DEP_4) | instskip(NEXT) | instid1(VALU_DEP_4)
	v_add_f64 v[28:29], v[41:42], v[28:29]
	v_fma_f64 v[182:183], v[114:115], s[16:17], -v[49:50]
	s_delay_alu instid0(VALU_DEP_3) | instskip(SKIP_3) | instid1(VALU_DEP_4)
	v_fma_f64 v[192:193], v[16:17], s[16:17], v[190:191]
	v_fma_f64 v[41:42], v[16:17], s[16:17], -v[190:191]
	v_mul_f64 v[190:191], v[158:159], s[52:53]
	v_mul_f64 v[158:159], v[158:159], s[46:47]
	v_add_f64 v[26:27], v[192:193], v[26:27]
	v_mul_f64 v[192:193], v[152:153], s[38:39]
	v_add_f64 v[30:31], v[41:42], v[30:31]
	s_delay_alu instid0(VALU_DEP_2) | instskip(SKIP_3) | instid1(VALU_DEP_4)
	v_fma_f64 v[194:195], v[10:11], s[20:21], -v[192:193]
	v_fma_f64 v[41:42], v[10:11], s[20:21], v[192:193]
	v_mul_f64 v[192:193], v[156:157], s[30:31]
	v_mul_f64 v[156:157], v[156:157], s[26:27]
	v_add_f64 v[24:25], v[194:195], v[24:25]
	v_mul_f64 v[194:195], v[150:151], s[38:39]
	v_add_f64 v[28:29], v[41:42], v[28:29]
	s_delay_alu instid0(VALU_DEP_2) | instskip(SKIP_3) | instid1(VALU_DEP_4)
	v_fma_f64 v[196:197], v[12:13], s[20:21], v[194:195]
	v_fma_f64 v[41:42], v[12:13], s[20:21], -v[194:195]
	v_mul_f64 v[194:195], v[154:155], s[30:31]
	v_mul_f64 v[154:155], v[154:155], s[26:27]
	v_add_f64 v[26:27], v[196:197], v[26:27]
	v_mul_f64 v[196:197], v[148:149], s[34:35]
	v_add_f64 v[30:31], v[41:42], v[30:31]
	s_delay_alu instid0(VALU_DEP_2) | instskip(SKIP_3) | instid1(VALU_DEP_4)
	v_fma_f64 v[198:199], v[6:7], s[2:3], -v[196:197]
	v_fma_f64 v[41:42], v[6:7], s[2:3], v[196:197]
	v_mul_f64 v[196:197], v[152:153], s[34:35]
	v_mul_f64 v[152:153], v[152:153], s[42:43]
	v_add_f64 v[24:25], v[198:199], v[24:25]
	v_mul_f64 v[198:199], v[146:147], s[34:35]
	v_add_f64 v[28:29], v[41:42], v[28:29]
	s_delay_alu instid0(VALU_DEP_2) | instskip(SKIP_3) | instid1(VALU_DEP_4)
	v_fma_f64 v[200:201], v[8:9], s[2:3], v[198:199]
	v_fma_f64 v[41:42], v[8:9], s[2:3], -v[198:199]
	v_mul_f64 v[198:199], v[150:151], s[34:35]
	v_mul_f64 v[150:151], v[150:151], s[42:43]
	v_add_f64 v[26:27], v[200:201], v[26:27]
	v_mul_f64 v[200:201], v[144:145], s[42:43]
	v_add_f64 v[30:31], v[41:42], v[30:31]
	s_delay_alu instid0(VALU_DEP_2) | instskip(SKIP_3) | instid1(VALU_DEP_4)
	v_fma_f64 v[202:203], v[2:3], s[18:19], -v[200:201]
	v_fma_f64 v[41:42], v[2:3], s[18:19], v[200:201]
	v_mul_f64 v[200:201], v[148:149], s[46:47]
	v_mul_f64 v[148:149], v[148:149], s[24:25]
	v_add_f64 v[24:25], v[202:203], v[24:25]
	v_mul_f64 v[202:203], v[132:133], s[42:43]
	v_add_f64 v[28:29], v[41:42], v[28:29]
	v_mul_f64 v[41:42], v[168:169], s[42:43]
	s_delay_alu instid0(VALU_DEP_3) | instskip(SKIP_2) | instid1(VALU_DEP_3)
	v_fma_f64 v[43:44], v[4:5], s[18:19], -v[202:203]
	v_fma_f64 v[204:205], v[4:5], s[18:19], v[202:203]
	v_mul_f64 v[202:203], v[146:147], s[46:47]
	v_add_f64 v[30:31], v[43:44], v[30:31]
	v_fma_f64 v[43:44], v[118:119], s[18:19], -v[41:42]
	s_delay_alu instid0(VALU_DEP_4) | instskip(SKIP_2) | instid1(VALU_DEP_4)
	v_add_f64 v[26:27], v[204:205], v[26:27]
	v_mul_f64 v[204:205], v[144:145], s[24:25]
	v_fma_f64 v[41:42], v[118:119], s[18:19], v[41:42]
	v_add_f64 v[43:44], v[43:44], v[184:185]
	s_delay_alu instid0(VALU_DEP_2) | instskip(NEXT) | instid1(VALU_DEP_2)
	v_add_f64 v[41:42], v[41:42], v[180:181]
	v_add_f64 v[43:44], v[182:183], v[43:44]
	v_fma_f64 v[182:183], v[116:117], s[16:17], v[186:187]
	s_delay_alu instid0(VALU_DEP_1) | instskip(SKIP_1) | instid1(VALU_DEP_1)
	v_add_f64 v[47:48], v[182:183], v[47:48]
	v_fma_f64 v[182:183], v[18:19], s[12:13], -v[188:189]
	v_add_f64 v[43:44], v[182:183], v[43:44]
	v_fma_f64 v[182:183], v[112:113], s[12:13], v[190:191]
	s_delay_alu instid0(VALU_DEP_1) | instskip(SKIP_1) | instid1(VALU_DEP_1)
	v_add_f64 v[47:48], v[182:183], v[47:48]
	v_fma_f64 v[182:183], v[14:15], s[22:23], -v[192:193]
	;; [unrolled: 5-line block ×5, first 2 shown]
	v_add_f64 v[182:183], v[182:183], v[43:44]
	v_mul_f64 v[43:44], v[132:133], s[24:25]
	v_mul_f64 v[132:133], v[132:133], s[40:41]
	s_delay_alu instid0(VALU_DEP_2) | instskip(SKIP_1) | instid1(VALU_DEP_2)
	v_fma_f64 v[184:185], v[4:5], s[14:15], v[43:44]
	v_fma_f64 v[43:44], v[4:5], s[14:15], -v[43:44]
	v_add_f64 v[184:185], v[184:185], v[47:48]
	v_fma_f64 v[47:48], v[114:115], s[16:17], v[49:50]
	v_mul_f64 v[49:50], v[164:165], s[28:29]
	s_delay_alu instid0(VALU_DEP_2) | instskip(SKIP_1) | instid1(VALU_DEP_3)
	v_add_f64 v[41:42], v[47:48], v[41:42]
	v_fma_f64 v[47:48], v[116:117], s[16:17], -v[186:187]
	v_fma_f64 v[164:165], v[114:115], s[8:9], -v[49:50]
	s_delay_alu instid0(VALU_DEP_2) | instskip(SKIP_1) | instid1(VALU_DEP_1)
	v_add_f64 v[45:46], v[47:48], v[45:46]
	v_fma_f64 v[47:48], v[18:19], s[12:13], v[188:189]
	v_add_f64 v[41:42], v[47:48], v[41:42]
	v_fma_f64 v[47:48], v[112:113], s[12:13], -v[190:191]
	s_delay_alu instid0(VALU_DEP_1) | instskip(SKIP_1) | instid1(VALU_DEP_1)
	v_add_f64 v[45:46], v[47:48], v[45:46]
	v_fma_f64 v[47:48], v[14:15], s[22:23], v[192:193]
	v_add_f64 v[41:42], v[47:48], v[41:42]
	v_fma_f64 v[47:48], v[16:17], s[22:23], -v[194:195]
	s_delay_alu instid0(VALU_DEP_1) | instskip(SKIP_1) | instid1(VALU_DEP_1)
	;; [unrolled: 5-line block ×3, first 2 shown]
	v_add_f64 v[45:46], v[47:48], v[45:46]
	v_fma_f64 v[47:48], v[6:7], s[20:21], v[200:201]
	v_add_f64 v[41:42], v[47:48], v[41:42]
	v_fma_f64 v[47:48], v[8:9], s[20:21], -v[202:203]
	s_delay_alu instid0(VALU_DEP_1) | instskip(SKIP_1) | instid1(VALU_DEP_2)
	v_add_f64 v[45:46], v[47:48], v[45:46]
	v_fma_f64 v[47:48], v[2:3], s[14:15], v[204:205]
	v_add_f64 v[180:181], v[43:44], v[45:46]
	s_delay_alu instid0(VALU_DEP_2) | instskip(SKIP_3) | instid1(VALU_DEP_3)
	v_add_f64 v[178:179], v[47:48], v[41:42]
	v_mul_f64 v[41:42], v[168:169], s[44:45]
	v_mul_f64 v[45:46], v[166:167], s[44:45]
	;; [unrolled: 1-line block ×3, first 2 shown]
	v_fma_f64 v[43:44], v[118:119], s[22:23], -v[41:42]
	s_delay_alu instid0(VALU_DEP_3) | instskip(NEXT) | instid1(VALU_DEP_3)
	v_fma_f64 v[47:48], v[120:121], s[22:23], v[45:46]
	v_fma_f64 v[144:145], v[2:3], s[16:17], -v[166:167]
	v_fma_f64 v[41:42], v[118:119], s[22:23], v[41:42]
	s_delay_alu instid0(VALU_DEP_4) | instskip(NEXT) | instid1(VALU_DEP_4)
	v_add_f64 v[43:44], v[43:44], v[176:177]
	v_add_f64 v[47:48], v[47:48], v[174:175]
	s_delay_alu instid0(VALU_DEP_3) | instskip(NEXT) | instid1(VALU_DEP_3)
	v_add_f64 v[41:42], v[41:42], v[172:173]
	v_add_f64 v[43:44], v[164:165], v[43:44]
	v_fma_f64 v[164:165], v[116:117], s[8:9], v[162:163]
	s_delay_alu instid0(VALU_DEP_1) | instskip(SKIP_1) | instid1(VALU_DEP_1)
	v_add_f64 v[47:48], v[164:165], v[47:48]
	v_fma_f64 v[164:165], v[18:19], s[20:21], -v[160:161]
	v_add_f64 v[43:44], v[164:165], v[43:44]
	v_fma_f64 v[164:165], v[112:113], s[20:21], v[158:159]
	s_delay_alu instid0(VALU_DEP_1) | instskip(SKIP_1) | instid1(VALU_DEP_1)
	v_add_f64 v[47:48], v[164:165], v[47:48]
	v_fma_f64 v[164:165], v[14:15], s[12:13], -v[156:157]
	;; [unrolled: 5-line block ×4, first 2 shown]
	v_add_f64 v[43:44], v[164:165], v[43:44]
	v_mul_f64 v[164:165], v[146:147], s[24:25]
	s_delay_alu instid0(VALU_DEP_2) | instskip(NEXT) | instid1(VALU_DEP_2)
	v_add_f64 v[144:145], v[144:145], v[43:44]
	v_fma_f64 v[146:147], v[8:9], s[14:15], v[164:165]
	v_fma_f64 v[43:44], v[4:5], s[16:17], v[132:133]
	s_delay_alu instid0(VALU_DEP_2) | instskip(NEXT) | instid1(VALU_DEP_1)
	v_add_f64 v[47:48], v[146:147], v[47:48]
	v_add_f64 v[146:147], v[43:44], v[47:48]
	v_fma_f64 v[43:44], v[120:121], s[22:23], -v[45:46]
	v_fma_f64 v[45:46], v[114:115], s[8:9], v[49:50]
	v_fma_f64 v[47:48], v[4:5], s[16:17], -v[132:133]
	v_fma_f64 v[4:5], v[4:5], s[2:3], -v[34:35]
	s_delay_alu instid0(VALU_DEP_4) | instskip(NEXT) | instid1(VALU_DEP_4)
	v_add_f64 v[43:44], v[43:44], v[170:171]
	v_add_f64 v[41:42], v[45:46], v[41:42]
	v_fma_f64 v[45:46], v[116:117], s[8:9], -v[162:163]
	s_delay_alu instid0(VALU_DEP_1) | instskip(SKIP_2) | instid1(VALU_DEP_2)
	v_add_f64 v[43:44], v[45:46], v[43:44]
	v_fma_f64 v[45:46], v[18:19], s[20:21], v[160:161]
	v_fma_f64 v[18:19], v[18:19], s[16:17], v[126:127]
	v_add_f64 v[41:42], v[45:46], v[41:42]
	v_fma_f64 v[45:46], v[112:113], s[20:21], -v[158:159]
	s_delay_alu instid0(VALU_DEP_1) | instskip(SKIP_2) | instid1(VALU_DEP_2)
	v_add_f64 v[43:44], v[45:46], v[43:44]
	v_fma_f64 v[45:46], v[14:15], s[12:13], v[156:157]
	v_fma_f64 v[14:15], v[14:15], s[14:15], v[130:131]
	v_add_f64 v[41:42], v[45:46], v[41:42]
	v_fma_f64 v[45:46], v[16:17], s[12:13], -v[154:155]
	v_fma_f64 v[16:17], v[16:17], s[14:15], -v[134:135]
	s_delay_alu instid0(VALU_DEP_2) | instskip(SKIP_2) | instid1(VALU_DEP_2)
	v_add_f64 v[43:44], v[45:46], v[43:44]
	v_fma_f64 v[45:46], v[10:11], s[18:19], v[152:153]
	v_fma_f64 v[10:11], v[10:11], s[12:13], v[136:137]
	v_add_f64 v[41:42], v[45:46], v[41:42]
	v_fma_f64 v[45:46], v[12:13], s[18:19], -v[150:151]
	v_fma_f64 v[12:13], v[12:13], s[12:13], -v[138:139]
	s_delay_alu instid0(VALU_DEP_2) | instskip(SKIP_2) | instid1(VALU_DEP_2)
	v_add_f64 v[43:44], v[45:46], v[43:44]
	v_fma_f64 v[45:46], v[6:7], s[14:15], v[148:149]
	v_fma_f64 v[6:7], v[6:7], s[8:9], v[140:141]
	v_add_f64 v[41:42], v[45:46], v[41:42]
	v_fma_f64 v[45:46], v[8:9], s[14:15], -v[164:165]
	v_fma_f64 v[8:9], v[8:9], s[8:9], -v[142:143]
	s_delay_alu instid0(VALU_DEP_2) | instskip(SKIP_3) | instid1(VALU_DEP_3)
	v_add_f64 v[43:44], v[45:46], v[43:44]
	v_fma_f64 v[45:46], v[2:3], s[16:17], v[166:167]
	v_fma_f64 v[2:3], v[2:3], s[2:3], v[32:33]
	s_load_b64 s[2:3], s[0:1], 0x38
	v_add_f64 v[150:151], v[47:48], v[43:44]
	s_delay_alu instid0(VALU_DEP_3)
	v_add_f64 v[148:149], v[45:46], v[41:42]
	v_fma_f64 v[41:42], v[114:115], s[18:19], v[122:123]
	v_fma_f64 v[43:44], v[116:117], s[18:19], -v[124:125]
	v_fma_f64 v[45:46], v[112:113], s[16:17], -v[128:129]
	ds_store_b128 v38, v[68:71] offset:16
	ds_store_b128 v38, v[80:83] offset:32
	;; [unrolled: 1-line block ×14, first 2 shown]
	ds_store_b128 v38, v[72:75]
                                        ; implicit-def: $vgpr100_vgpr101
                                        ; implicit-def: $vgpr108_vgpr109
                                        ; implicit-def: $vgpr116_vgpr117
	v_add_f64 v[20:21], v[41:42], v[20:21]
	v_add_f64 v[22:23], v[43:44], v[22:23]
	s_delay_alu instid0(VALU_DEP_2) | instskip(NEXT) | instid1(VALU_DEP_2)
	v_add_f64 v[18:19], v[18:19], v[20:21]
	v_add_f64 v[20:21], v[45:46], v[22:23]
	s_delay_alu instid0(VALU_DEP_2) | instskip(NEXT) | instid1(VALU_DEP_2)
	;; [unrolled: 3-line block ×5, first 2 shown]
	v_add_f64 v[76:77], v[2:3], v[6:7]
	v_add_f64 v[78:79], v[4:5], v[8:9]
	ds_store_b128 v38, v[84:87] offset:240
	ds_store_b128 v38, v[76:79] offset:256
	s_waitcnt lgkmcnt(0)
	s_barrier
	buffer_gl0_inv
	ds_load_b128 v[96:99], v36
	ds_load_b128 v[148:151], v36 offset:4624
	ds_load_b128 v[144:147], v36 offset:9248
	;; [unrolled: 1-line block ×14, first 2 shown]
	s_and_saveexec_b32 s0, vcc_lo
	s_cbranch_execz .LBB0_3
; %bb.2:
	ds_load_b128 v[84:87], v36 offset:4080
	ds_load_b128 v[76:79], v36 offset:8704
	;; [unrolled: 1-line block ×5, first 2 shown]
.LBB0_3:
	s_or_b32 exec_lo, exec_lo, s0
	v_and_b32_e32 v0, 0xff, v52
	s_mov_b32 s0, 0x134454ff
	s_mov_b32 s1, 0x3fee6f0e
	;; [unrolled: 1-line block ×4, first 2 shown]
	v_mul_lo_u16 v0, 0xf1, v0
	s_mov_b32 s12, 0x4755a5e
	s_mov_b32 s13, 0x3fe2cf23
	;; [unrolled: 1-line block ×4, first 2 shown]
	v_lshrrev_b16 v40, 12, v0
	s_mov_b32 s16, 0x372fe950
	s_mov_b32 s17, 0x3fd3c6ef
	s_delay_alu instid0(VALU_DEP_1) | instskip(NEXT) | instid1(VALU_DEP_1)
	v_mul_lo_u16 v0, v40, 17
	v_sub_nc_u16 v0, v52, v0
	s_delay_alu instid0(VALU_DEP_1) | instskip(NEXT) | instid1(VALU_DEP_1)
	v_and_b32_e32 v41, 0xff, v0
	v_lshlrev_b32_e32 v0, 6, v41
	s_clause 0x2
	global_load_b128 v[140:143], v0, s[10:11]
	global_load_b128 v[152:155], v0, s[10:11] offset:16
	global_load_b128 v[156:159], v0, s[10:11] offset:48
	s_waitcnt vmcnt(2) lgkmcnt(13)
	v_mul_f64 v[2:3], v[150:151], v[142:143]
	s_delay_alu instid0(VALU_DEP_1) | instskip(SKIP_1) | instid1(VALU_DEP_1)
	v_fma_f64 v[166:167], v[148:149], v[140:141], -v[2:3]
	v_mul_f64 v[2:3], v[148:149], v[142:143]
	v_fma_f64 v[164:165], v[150:151], v[140:141], v[2:3]
	global_load_b128 v[148:151], v0, s[10:11] offset:32
	v_add_nc_u16 v0, v52, 0x55
	s_waitcnt vmcnt(2) lgkmcnt(12)
	v_mul_f64 v[2:3], v[146:147], v[154:155]
	s_delay_alu instid0(VALU_DEP_2) | instskip(NEXT) | instid1(VALU_DEP_1)
	v_and_b32_e32 v1, 0xff, v0
	v_mul_lo_u16 v1, 0xf1, v1
	s_delay_alu instid0(VALU_DEP_1) | instskip(NEXT) | instid1(VALU_DEP_1)
	v_lshrrev_b16 v42, 12, v1
	v_mul_lo_u16 v1, v42, 17
	s_delay_alu instid0(VALU_DEP_1) | instskip(NEXT) | instid1(VALU_DEP_1)
	v_sub_nc_u16 v0, v0, v1
	v_and_b32_e32 v43, 0xff, v0
	s_delay_alu instid0(VALU_DEP_1)
	v_lshlrev_b32_e32 v0, 6, v43
	v_fma_f64 v[196:197], v[144:145], v[152:153], -v[2:3]
	s_clause 0x1
	global_load_b128 v[160:163], v0, s[10:11]
	global_load_b128 v[168:171], v0, s[10:11] offset:16
	v_mul_f64 v[2:3], v[144:145], v[154:155]
	s_clause 0x1
	global_load_b128 v[172:175], v0, s[10:11] offset:32
	global_load_b128 v[176:179], v0, s[10:11] offset:48
	v_add_nc_u16 v0, v52, 0xaa
	s_delay_alu instid0(VALU_DEP_1) | instskip(NEXT) | instid1(VALU_DEP_1)
	v_and_b32_e32 v1, 0xff, v0
	v_mul_lo_u16 v1, 0xf1, v1
	v_fma_f64 v[144:145], v[146:147], v[152:153], v[2:3]
	s_waitcnt vmcnt(4) lgkmcnt(11)
	v_mul_f64 v[2:3], v[138:139], v[150:151]
	s_delay_alu instid0(VALU_DEP_1) | instskip(SKIP_1) | instid1(VALU_DEP_1)
	v_fma_f64 v[146:147], v[136:137], v[148:149], -v[2:3]
	v_mul_f64 v[2:3], v[136:137], v[150:151]
	v_fma_f64 v[136:137], v[138:139], v[148:149], v[2:3]
	s_waitcnt lgkmcnt(10)
	v_mul_f64 v[2:3], v[132:133], v[158:159]
	s_delay_alu instid0(VALU_DEP_2) | instskip(NEXT) | instid1(VALU_DEP_2)
	v_add_f64 v[50:51], v[144:145], v[136:137]
	v_fma_f64 v[138:139], v[134:135], v[156:157], v[2:3]
	v_mul_f64 v[2:3], v[134:135], v[158:159]
	s_delay_alu instid0(VALU_DEP_3) | instskip(NEXT) | instid1(VALU_DEP_3)
	v_fma_f64 v[50:51], v[50:51], -0.5, v[98:99]
	v_add_f64 v[48:49], v[138:139], -v[136:137]
	s_delay_alu instid0(VALU_DEP_3) | instskip(SKIP_2) | instid1(VALU_DEP_1)
	v_fma_f64 v[134:135], v[132:133], v[156:157], -v[2:3]
	s_waitcnt vmcnt(3) lgkmcnt(8)
	v_mul_f64 v[2:3], v[130:131], v[162:163]
	v_fma_f64 v[132:133], v[128:129], v[160:161], -v[2:3]
	v_mul_f64 v[2:3], v[128:129], v[162:163]
	s_delay_alu instid0(VALU_DEP_1) | instskip(SKIP_3) | instid1(VALU_DEP_2)
	v_fma_f64 v[34:35], v[130:131], v[160:161], v[2:3]
	s_waitcnt vmcnt(2) lgkmcnt(7)
	v_mul_f64 v[2:3], v[126:127], v[170:171]
	v_add_f64 v[130:131], v[196:197], -v[166:167]
	v_fma_f64 v[128:129], v[124:125], v[168:169], -v[2:3]
	v_mul_f64 v[2:3], v[124:125], v[170:171]
	s_delay_alu instid0(VALU_DEP_1) | instskip(SKIP_2) | instid1(VALU_DEP_1)
	v_fma_f64 v[124:125], v[126:127], v[168:169], v[2:3]
	s_waitcnt vmcnt(1) lgkmcnt(6)
	v_mul_f64 v[2:3], v[122:123], v[174:175]
	v_fma_f64 v[126:127], v[120:121], v[172:173], -v[2:3]
	v_mul_f64 v[2:3], v[120:121], v[174:175]
	s_delay_alu instid0(VALU_DEP_1) | instskip(SKIP_2) | instid1(VALU_DEP_1)
	v_fma_f64 v[120:121], v[122:123], v[172:173], v[2:3]
	s_waitcnt vmcnt(0) lgkmcnt(5)
	v_mul_f64 v[2:3], v[112:113], v[178:179]
	v_fma_f64 v[122:123], v[114:115], v[176:177], v[2:3]
	v_mul_f64 v[2:3], v[114:115], v[178:179]
	v_lshrrev_b16 v114, 12, v1
	s_delay_alu instid0(VALU_DEP_1) | instskip(NEXT) | instid1(VALU_DEP_1)
	v_mul_lo_u16 v1, v114, 17
	v_sub_nc_u16 v0, v0, v1
	s_delay_alu instid0(VALU_DEP_1) | instskip(NEXT) | instid1(VALU_DEP_1)
	v_and_b32_e32 v115, 0xff, v0
	v_lshlrev_b32_e32 v0, 6, v115
	s_clause 0x3
	global_load_b128 v[184:187], v0, s[10:11]
	global_load_b128 v[180:183], v0, s[10:11] offset:16
	global_load_b128 v[188:191], v0, s[10:11] offset:32
	;; [unrolled: 1-line block ×3, first 2 shown]
	v_add_nc_u16 v0, v52, 0xff
	s_delay_alu instid0(VALU_DEP_1) | instskip(SKIP_1) | instid1(VALU_DEP_2)
	v_and_b32_e32 v1, 0xffff, v0
	v_fma_f64 v[112:113], v[112:113], v[176:177], -v[2:3]
	v_mul_u32_u24_e32 v1, 0xf0f1, v1
	s_delay_alu instid0(VALU_DEP_1) | instskip(SKIP_2) | instid1(VALU_DEP_1)
	v_lshrrev_b32_e32 v1, 20, v1
	scratch_store_b32 off, v1, off offset:332 ; 4-byte Folded Spill
	v_mul_lo_u16 v1, v1, 17
	v_sub_nc_u16 v0, v0, v1
	scratch_store_b32 off, v0, off offset:336 ; 4-byte Folded Spill
	v_lshlrev_b16 v0, 2, v0
	s_delay_alu instid0(VALU_DEP_1) | instskip(NEXT) | instid1(VALU_DEP_1)
	v_and_b32_e32 v0, 0xffff, v0
	v_lshlrev_b32_e32 v0, 4, v0
	s_clause 0x2
	global_load_b128 v[4:7], v0, s[10:11]
	global_load_b128 v[10:13], v0, s[10:11] offset:16
	global_load_b128 v[44:47], v0, s[10:11] offset:32
	s_waitcnt vmcnt(6) lgkmcnt(3)
	v_mul_f64 v[2:3], v[106:107], v[186:187]
	s_delay_alu instid0(VALU_DEP_1)
	v_fma_f64 v[20:21], v[104:105], v[184:185], -v[2:3]
	v_mul_f64 v[2:3], v[104:105], v[186:187]
	s_waitcnt vmcnt(2)
	scratch_store_b128 off, v[4:7], off offset:368 ; 16-byte Folded Spill
	s_waitcnt vmcnt(1)
	scratch_store_b128 off, v[10:13], off offset:384 ; 16-byte Folded Spill
	;; [unrolled: 2-line block ×3, first 2 shown]
	v_fma_f64 v[18:19], v[106:107], v[184:185], v[2:3]
	s_waitcnt lgkmcnt(2)
	v_mul_f64 v[2:3], v[82:83], v[182:183]
	s_delay_alu instid0(VALU_DEP_1) | instskip(SKIP_1) | instid1(VALU_DEP_1)
	v_fma_f64 v[24:25], v[80:81], v[180:181], -v[2:3]
	v_mul_f64 v[2:3], v[80:81], v[182:183]
	v_fma_f64 v[26:27], v[82:83], v[180:181], v[2:3]
	s_waitcnt lgkmcnt(1)
	v_mul_f64 v[2:3], v[74:75], v[190:191]
	s_delay_alu instid0(VALU_DEP_1) | instskip(SKIP_1) | instid1(VALU_DEP_1)
	v_fma_f64 v[28:29], v[72:73], v[188:189], -v[2:3]
	v_mul_f64 v[2:3], v[72:73], v[190:191]
	;; [unrolled: 6-line block ×3, first 2 shown]
	v_fma_f64 v[32:33], v[70:71], v[192:193], v[2:3]
	v_mul_f64 v[2:3], v[78:79], v[6:7]
	s_delay_alu instid0(VALU_DEP_1) | instskip(SKIP_2) | instid1(VALU_DEP_2)
	v_fma_f64 v[8:9], v[76:77], v[4:5], -v[2:3]
	v_mul_f64 v[2:3], v[76:77], v[6:7]
	v_mul_f64 v[6:7], v[108:109], v[46:47]
	v_fma_f64 v[16:17], v[78:79], v[4:5], v[2:3]
	v_mul_f64 v[2:3], v[102:103], v[12:13]
	s_delay_alu instid0(VALU_DEP_1) | instskip(SKIP_1) | instid1(VALU_DEP_1)
	v_fma_f64 v[4:5], v[100:101], v[10:11], -v[2:3]
	v_mul_f64 v[2:3], v[100:101], v[12:13]
	v_fma_f64 v[12:13], v[102:103], v[10:11], v[2:3]
	v_mul_f64 v[2:3], v[110:111], v[46:47]
	v_fma_f64 v[10:11], v[110:111], v[44:45], v[6:7]
	v_add_f64 v[110:111], v[144:145], -v[136:137]
	s_delay_alu instid0(VALU_DEP_3) | instskip(SKIP_3) | instid1(VALU_DEP_1)
	v_fma_f64 v[2:3], v[108:109], v[44:45], -v[2:3]
	global_load_b128 v[44:47], v0, s[10:11] offset:48
	v_add_f64 v[108:109], v[164:165], -v[138:139]
	v_and_b32_e32 v0, 0xffff, v40
	v_mul_u32_u24_e32 v0, 0x55, v0
	s_delay_alu instid0(VALU_DEP_1)
	v_add_lshl_u32 v0, v0, v41, 4
	s_waitcnt vmcnt(0)
	v_mul_f64 v[6:7], v[118:119], v[46:47]
	v_mul_f64 v[14:15], v[116:117], v[46:47]
	scratch_store_b128 off, v[44:47], off offset:416 ; 16-byte Folded Spill
	v_add_f64 v[46:47], v[134:135], -v[146:147]
	s_waitcnt_vscnt null, 0x0
	s_barrier
	buffer_gl0_inv
	v_fma_f64 v[6:7], v[116:117], v[44:45], -v[6:7]
	v_fma_f64 v[14:15], v[118:119], v[44:45], v[14:15]
	v_add_f64 v[44:45], v[166:167], -v[196:197]
	v_add_f64 v[116:117], v[166:167], -v[134:135]
	;; [unrolled: 1-line block ×3, first 2 shown]
	s_delay_alu instid0(VALU_DEP_3) | instskip(SKIP_1) | instid1(VALU_DEP_4)
	v_add_f64 v[44:45], v[44:45], v[46:47]
	v_add_f64 v[46:47], v[164:165], -v[144:145]
	v_fma_f64 v[102:103], v[116:117], s[8:9], v[50:51]
	v_fma_f64 v[50:51], v[116:117], s[0:1], v[50:51]
	s_delay_alu instid0(VALU_DEP_3) | instskip(SKIP_1) | instid1(VALU_DEP_3)
	v_add_f64 v[46:47], v[46:47], v[48:49]
	v_add_f64 v[48:49], v[196:197], v[146:147]
	v_fma_f64 v[50:51], v[118:119], s[12:13], v[50:51]
	v_fma_f64 v[102:103], v[118:119], s[14:15], v[102:103]
	s_delay_alu instid0(VALU_DEP_3) | instskip(NEXT) | instid1(VALU_DEP_3)
	v_fma_f64 v[48:49], v[48:49], -0.5, v[96:97]
	v_fma_f64 v[106:107], v[46:47], s[16:17], v[50:51]
	v_add_f64 v[50:51], v[98:99], v[164:165]
	s_delay_alu instid0(VALU_DEP_4)
	v_fma_f64 v[102:103], v[46:47], s[16:17], v[102:103]
	v_add_f64 v[46:47], v[164:165], v[138:139]
	v_fma_f64 v[100:101], v[108:109], s[0:1], v[48:49]
	v_fma_f64 v[48:49], v[108:109], s[8:9], v[48:49]
	v_add_f64 v[50:51], v[50:51], v[144:145]
	v_add_f64 v[144:145], v[144:145], -v[164:165]
	v_fma_f64 v[46:47], v[46:47], -0.5, v[98:99]
	v_fma_f64 v[100:101], v[110:111], s[12:13], v[100:101]
	v_fma_f64 v[48:49], v[110:111], s[14:15], v[48:49]
	v_add_f64 v[50:51], v[50:51], v[136:137]
	s_delay_alu instid0(VALU_DEP_3) | instskip(NEXT) | instid1(VALU_DEP_3)
	v_fma_f64 v[100:101], v[44:45], s[16:17], v[100:101]
	v_fma_f64 v[104:105], v[44:45], s[16:17], v[48:49]
	v_add_f64 v[48:49], v[96:97], v[166:167]
	v_add_f64 v[44:45], v[166:167], v[134:135]
	;; [unrolled: 1-line block ×3, first 2 shown]
	s_delay_alu instid0(VALU_DEP_3) | instskip(NEXT) | instid1(VALU_DEP_3)
	v_add_f64 v[48:49], v[48:49], v[196:197]
	v_fma_f64 v[44:45], v[44:45], -0.5, v[96:97]
	s_delay_alu instid0(VALU_DEP_2) | instskip(SKIP_1) | instid1(VALU_DEP_3)
	v_add_f64 v[48:49], v[48:49], v[146:147]
	v_add_f64 v[146:147], v[146:147], -v[134:135]
	v_fma_f64 v[50:51], v[110:111], s[8:9], v[44:45]
	v_fma_f64 v[44:45], v[110:111], s[0:1], v[44:45]
	v_fma_f64 v[110:111], v[118:119], s[0:1], v[46:47]
	v_fma_f64 v[46:47], v[118:119], s[8:9], v[46:47]
	v_add_f64 v[96:97], v[48:49], v[134:135]
	v_add_f64 v[48:49], v[136:137], -v[138:139]
	v_add_f64 v[118:119], v[130:131], v[146:147]
	v_fma_f64 v[50:51], v[108:109], s[12:13], v[50:51]
	v_fma_f64 v[44:45], v[108:109], s[14:15], v[44:45]
	;; [unrolled: 1-line block ×4, first 2 shown]
	v_add_f64 v[130:131], v[34:35], -v[122:123]
	v_add_f64 v[138:139], v[124:125], -v[120:121]
	;; [unrolled: 1-line block ×3, first 2 shown]
	ds_store_b128 v0, v[96:99]
	v_add_f64 v[48:49], v[144:145], v[48:49]
	v_add_f64 v[144:145], v[132:133], -v[112:113]
	v_fma_f64 v[108:109], v[118:119], s[16:17], v[50:51]
	v_fma_f64 v[116:117], v[118:119], s[16:17], v[44:45]
	v_add_f64 v[44:45], v[132:133], -v[128:129]
	v_add_f64 v[50:51], v[124:125], v[120:121]
	v_fma_f64 v[118:119], v[48:49], s[16:17], v[46:47]
	v_add_f64 v[46:47], v[112:113], -v[126:127]
	v_fma_f64 v[110:111], v[48:49], s[16:17], v[110:111]
	v_add_f64 v[48:49], v[122:123], -v[120:121]
	v_fma_f64 v[50:51], v[50:51], -0.5, v[94:95]
	s_delay_alu instid0(VALU_DEP_4) | instskip(SKIP_1) | instid1(VALU_DEP_3)
	v_add_f64 v[44:45], v[44:45], v[46:47]
	v_add_f64 v[46:47], v[34:35], -v[124:125]
	v_fma_f64 v[98:99], v[144:145], s[8:9], v[50:51]
	v_fma_f64 v[50:51], v[144:145], s[0:1], v[50:51]
	s_delay_alu instid0(VALU_DEP_3) | instskip(SKIP_1) | instid1(VALU_DEP_4)
	v_add_f64 v[46:47], v[46:47], v[48:49]
	v_add_f64 v[48:49], v[128:129], v[126:127]
	v_fma_f64 v[98:99], v[146:147], s[14:15], v[98:99]
	s_delay_alu instid0(VALU_DEP_4) | instskip(NEXT) | instid1(VALU_DEP_3)
	v_fma_f64 v[50:51], v[146:147], s[12:13], v[50:51]
	v_fma_f64 v[48:49], v[48:49], -0.5, v[92:93]
	s_delay_alu instid0(VALU_DEP_3) | instskip(NEXT) | instid1(VALU_DEP_3)
	v_fma_f64 v[98:99], v[46:47], s[16:17], v[98:99]
	v_fma_f64 v[136:137], v[46:47], s[16:17], v[50:51]
	v_add_f64 v[50:51], v[94:95], v[34:35]
	v_add_f64 v[46:47], v[34:35], v[122:123]
	v_add_f64 v[34:35], v[124:125], -v[34:35]
	v_fma_f64 v[96:97], v[130:131], s[0:1], v[48:49]
	v_fma_f64 v[48:49], v[130:131], s[8:9], v[48:49]
	v_add_f64 v[50:51], v[50:51], v[124:125]
	v_fma_f64 v[46:47], v[46:47], -0.5, v[94:95]
	v_add_f64 v[124:125], v[126:127], -v[112:113]
	v_fma_f64 v[96:97], v[138:139], s[12:13], v[96:97]
	v_fma_f64 v[48:49], v[138:139], s[14:15], v[48:49]
	v_add_f64 v[50:51], v[50:51], v[120:121]
	s_delay_alu instid0(VALU_DEP_3) | instskip(NEXT) | instid1(VALU_DEP_3)
	v_fma_f64 v[96:97], v[44:45], s[16:17], v[96:97]
	v_fma_f64 v[134:135], v[44:45], s[16:17], v[48:49]
	v_add_f64 v[48:49], v[92:93], v[132:133]
	v_add_f64 v[44:45], v[132:133], v[112:113]
	v_add_f64 v[132:133], v[128:129], -v[132:133]
	v_add_f64 v[94:95], v[50:51], v[122:123]
	s_delay_alu instid0(VALU_DEP_4) | instskip(NEXT) | instid1(VALU_DEP_4)
	v_add_f64 v[48:49], v[48:49], v[128:129]
	v_fma_f64 v[44:45], v[44:45], -0.5, v[92:93]
	s_delay_alu instid0(VALU_DEP_4) | instskip(SKIP_1) | instid1(VALU_DEP_4)
	v_add_f64 v[124:125], v[132:133], v[124:125]
	v_add_f64 v[132:133], v[20:21], -v[30:31]
	v_add_f64 v[48:49], v[48:49], v[126:127]
	s_delay_alu instid0(VALU_DEP_4) | instskip(SKIP_2) | instid1(VALU_DEP_4)
	v_fma_f64 v[50:51], v[138:139], s[8:9], v[44:45]
	v_fma_f64 v[44:45], v[138:139], s[0:1], v[44:45]
	v_add_f64 v[138:139], v[24:25], -v[28:29]
	v_add_f64 v[92:93], v[48:49], v[112:113]
	v_add_f64 v[48:49], v[120:121], -v[122:123]
	v_fma_f64 v[112:113], v[146:147], s[0:1], v[46:47]
	v_fma_f64 v[46:47], v[146:147], s[8:9], v[46:47]
	;; [unrolled: 1-line block ×3, first 2 shown]
	s_delay_alu instid0(VALU_DEP_4) | instskip(SKIP_4) | instid1(VALU_DEP_4)
	v_add_f64 v[34:35], v[34:35], v[48:49]
	v_fma_f64 v[48:49], v[130:131], s[12:13], v[50:51]
	v_fma_f64 v[50:51], v[144:145], s[14:15], v[112:113]
	;; [unrolled: 1-line block ×3, first 2 shown]
	v_add_f64 v[112:113], v[26:27], -v[22:23]
	v_fma_f64 v[120:121], v[124:125], s[16:17], v[48:49]
	s_delay_alu instid0(VALU_DEP_4)
	v_fma_f64 v[122:123], v[34:35], s[16:17], v[50:51]
	v_fma_f64 v[124:125], v[124:125], s[16:17], v[44:45]
	;; [unrolled: 1-line block ×3, first 2 shown]
	v_add_f64 v[34:35], v[20:21], -v[24:25]
	v_add_f64 v[44:45], v[30:31], -v[28:29]
	;; [unrolled: 1-line block ×3, first 2 shown]
	v_add_f64 v[48:49], v[26:27], v[22:23]
	v_add_f64 v[50:51], v[18:19], -v[32:33]
	s_delay_alu instid0(VALU_DEP_4) | instskip(SKIP_1) | instid1(VALU_DEP_4)
	v_add_f64 v[34:35], v[34:35], v[44:45]
	v_add_f64 v[44:45], v[18:19], -v[26:27]
	v_fma_f64 v[48:49], v[48:49], -0.5, v[90:91]
	s_delay_alu instid0(VALU_DEP_2) | instskip(SKIP_1) | instid1(VALU_DEP_3)
	v_add_f64 v[44:45], v[44:45], v[46:47]
	v_add_f64 v[46:47], v[24:25], v[28:29]
	v_fma_f64 v[130:131], v[132:133], s[8:9], v[48:49]
	v_fma_f64 v[48:49], v[132:133], s[0:1], v[48:49]
	s_delay_alu instid0(VALU_DEP_3) | instskip(NEXT) | instid1(VALU_DEP_3)
	v_fma_f64 v[46:47], v[46:47], -0.5, v[88:89]
	v_fma_f64 v[130:131], v[138:139], s[14:15], v[130:131]
	s_delay_alu instid0(VALU_DEP_3) | instskip(NEXT) | instid1(VALU_DEP_3)
	v_fma_f64 v[48:49], v[138:139], s[12:13], v[48:49]
	v_fma_f64 v[128:129], v[50:51], s[0:1], v[46:47]
	;; [unrolled: 1-line block ×3, first 2 shown]
	s_delay_alu instid0(VALU_DEP_3)
	v_fma_f64 v[146:147], v[44:45], s[16:17], v[48:49]
	v_add_f64 v[48:49], v[90:91], v[18:19]
	v_fma_f64 v[130:131], v[44:45], s[16:17], v[130:131]
	v_add_f64 v[44:45], v[18:19], v[32:33]
	v_add_f64 v[18:19], v[26:27], -v[18:19]
	v_fma_f64 v[128:129], v[112:113], s[12:13], v[128:129]
	v_fma_f64 v[46:47], v[112:113], s[14:15], v[46:47]
	s_delay_alu instid0(VALU_DEP_4) | instskip(NEXT) | instid1(VALU_DEP_3)
	v_fma_f64 v[44:45], v[44:45], -0.5, v[90:91]
	v_fma_f64 v[128:129], v[34:35], s[16:17], v[128:129]
	s_delay_alu instid0(VALU_DEP_3) | instskip(SKIP_3) | instid1(VALU_DEP_3)
	v_fma_f64 v[144:145], v[34:35], s[16:17], v[46:47]
	v_add_f64 v[46:47], v[88:89], v[20:21]
	v_add_f64 v[34:35], v[20:21], v[30:31]
	v_add_f64 v[20:21], v[24:25], -v[20:21]
	v_add_f64 v[24:25], v[46:47], v[24:25]
	v_add_f64 v[46:47], v[48:49], v[26:27]
	s_delay_alu instid0(VALU_DEP_4) | instskip(SKIP_1) | instid1(VALU_DEP_4)
	v_fma_f64 v[34:35], v[34:35], -0.5, v[88:89]
	v_add_f64 v[48:49], v[28:29], -v[30:31]
	v_add_f64 v[24:25], v[24:25], v[28:29]
	s_delay_alu instid0(VALU_DEP_4) | instskip(SKIP_1) | instid1(VALU_DEP_4)
	v_add_f64 v[46:47], v[46:47], v[22:23]
	v_add_f64 v[22:23], v[22:23], -v[32:33]
	v_add_f64 v[20:21], v[20:21], v[48:49]
	s_delay_alu instid0(VALU_DEP_4) | instskip(NEXT) | instid1(VALU_DEP_4)
	v_add_f64 v[26:27], v[24:25], v[30:31]
	v_add_f64 v[28:29], v[46:47], v[32:33]
	v_fma_f64 v[24:25], v[112:113], s[8:9], v[34:35]
	v_fma_f64 v[30:31], v[112:113], s[0:1], v[34:35]
	;; [unrolled: 1-line block ×4, first 2 shown]
	v_add_f64 v[18:19], v[18:19], v[22:23]
	v_fma_f64 v[22:23], v[50:51], s[12:13], v[24:25]
	v_fma_f64 v[24:25], v[50:51], s[14:15], v[30:31]
	;; [unrolled: 1-line block ×4, first 2 shown]
	s_delay_alu instid0(VALU_DEP_4) | instskip(NEXT) | instid1(VALU_DEP_4)
	v_fma_f64 v[30:31], v[20:21], s[16:17], v[22:23]
	v_fma_f64 v[88:89], v[20:21], s[16:17], v[24:25]
	s_delay_alu instid0(VALU_DEP_4) | instskip(NEXT) | instid1(VALU_DEP_4)
	v_fma_f64 v[32:33], v[18:19], s[16:17], v[32:33]
	v_fma_f64 v[90:91], v[18:19], s[16:17], v[34:35]
	v_add_f64 v[18:19], v[4:5], -v[8:9]
	v_add_f64 v[20:21], v[2:3], -v[6:7]
	;; [unrolled: 1-line block ×3, first 2 shown]
	s_delay_alu instid0(VALU_DEP_2) | instskip(SKIP_2) | instid1(VALU_DEP_1)
	v_add_f64 v[34:35], v[18:19], v[20:21]
	v_add_f64 v[18:19], v[12:13], -v[16:17]
	v_add_f64 v[20:21], v[10:11], -v[14:15]
	v_add_f64 v[44:45], v[18:19], v[20:21]
	v_add_f64 v[18:19], v[8:9], v[6:7]
	v_add_f64 v[20:21], v[16:17], -v[14:15]
	s_delay_alu instid0(VALU_DEP_2) | instskip(SKIP_1) | instid1(VALU_DEP_1)
	v_fma_f64 v[46:47], v[18:19], -0.5, v[84:85]
	v_add_f64 v[18:19], v[16:17], v[14:15]
	v_fma_f64 v[48:49], v[18:19], -0.5, v[86:87]
	v_add_f64 v[18:19], v[12:13], -v[10:11]
	s_delay_alu instid0(VALU_DEP_1) | instskip(SKIP_1) | instid1(VALU_DEP_2)
	v_fma_f64 v[22:23], v[18:19], s[8:9], v[46:47]
	v_fma_f64 v[46:47], v[18:19], s[0:1], v[46:47]
	;; [unrolled: 1-line block ×3, first 2 shown]
	v_add_f64 v[22:23], v[4:5], -v[2:3]
	s_delay_alu instid0(VALU_DEP_3) | instskip(NEXT) | instid1(VALU_DEP_3)
	v_fma_f64 v[46:47], v[20:21], s[14:15], v[46:47]
	v_fma_f64 v[53:54], v[34:35], s[16:17], v[50:51]
	s_delay_alu instid0(VALU_DEP_3) | instskip(SKIP_1) | instid1(VALU_DEP_4)
	v_fma_f64 v[112:113], v[22:23], s[0:1], v[48:49]
	v_fma_f64 v[48:49], v[22:23], s[8:9], v[48:49]
	;; [unrolled: 1-line block ×3, first 2 shown]
	s_delay_alu instid0(VALU_DEP_3) | instskip(NEXT) | instid1(VALU_DEP_3)
	v_fma_f64 v[112:113], v[24:25], s[14:15], v[112:113]
	v_fma_f64 v[48:49], v[24:25], s[12:13], v[48:49]
	s_delay_alu instid0(VALU_DEP_2) | instskip(NEXT) | instid1(VALU_DEP_2)
	v_fma_f64 v[55:56], v[44:45], s[16:17], v[112:113]
	v_fma_f64 v[48:49], v[44:45], s[16:17], v[48:49]
	s_clause 0x1
	scratch_store_b128 off, v[53:56], off
	scratch_store_b128 off, v[46:49], off offset:16
	ds_store_b128 v0, v[100:103] offset:272
	ds_store_b128 v0, v[108:111] offset:544
	;; [unrolled: 1-line block ×3, first 2 shown]
	scratch_store_b32 off, v0, off offset:340 ; 4-byte Folded Spill
	ds_store_b128 v0, v[104:107] offset:1088
	v_and_b32_e32 v0, 0xffff, v42
	s_delay_alu instid0(VALU_DEP_1) | instskip(NEXT) | instid1(VALU_DEP_1)
	v_mul_u32_u24_e32 v0, 0x55, v0
	v_add_lshl_u32 v42, v0, v43, 4
	v_and_b32_e32 v0, 0xffff, v114
	ds_store_b128 v42, v[92:95]
	ds_store_b128 v42, v[96:99] offset:272
	ds_store_b128 v42, v[120:123] offset:544
	;; [unrolled: 1-line block ×4, first 2 shown]
	v_mul_u32_u24_e32 v0, 0x55, v0
	s_delay_alu instid0(VALU_DEP_1)
	v_add_lshl_u32 v69, v0, v115, 4
	ds_store_b128 v69, v[26:29]
	ds_store_b128 v69, v[128:131] offset:272
	ds_store_b128 v69, v[30:33] offset:544
	;; [unrolled: 1-line block ×4, first 2 shown]
	v_add_f64 v[26:27], v[8:9], -v[4:5]
	v_add_f64 v[28:29], v[6:7], -v[2:3]
	;; [unrolled: 1-line block ×3, first 2 shown]
	v_add_f64 v[32:33], v[12:13], v[10:11]
	s_delay_alu instid0(VALU_DEP_3) | instskip(SKIP_1) | instid1(VALU_DEP_3)
	v_add_f64 v[26:27], v[26:27], v[28:29]
	v_add_f64 v[28:29], v[16:17], -v[12:13]
	v_fma_f64 v[32:33], v[32:33], -0.5, v[86:87]
	s_delay_alu instid0(VALU_DEP_2) | instskip(SKIP_1) | instid1(VALU_DEP_3)
	v_add_f64 v[28:29], v[28:29], v[30:31]
	v_add_f64 v[30:31], v[4:5], v[2:3]
	v_fma_f64 v[43:44], v[24:25], s[0:1], v[32:33]
	s_delay_alu instid0(VALU_DEP_2) | instskip(NEXT) | instid1(VALU_DEP_2)
	v_fma_f64 v[30:31], v[30:31], -0.5, v[84:85]
	v_fma_f64 v[43:44], v[22:23], s[12:13], v[43:44]
	s_delay_alu instid0(VALU_DEP_2) | instskip(NEXT) | instid1(VALU_DEP_2)
	v_fma_f64 v[34:35], v[20:21], s[8:9], v[30:31]
	v_fma_f64 v[47:48], v[28:29], s[16:17], v[43:44]
	s_delay_alu instid0(VALU_DEP_2) | instskip(NEXT) | instid1(VALU_DEP_1)
	v_fma_f64 v[34:35], v[18:19], s[14:15], v[34:35]
	v_fma_f64 v[45:46], v[26:27], s[16:17], v[34:35]
	scratch_store_b128 off, v[45:48], off offset:32 ; 16-byte Folded Spill
	s_and_saveexec_b32 s8, vcc_lo
	s_cbranch_execz .LBB0_5
; %bb.4:
	v_add_f64 v[16:17], v[86:87], v[16:17]
	v_add_f64 v[8:9], v[84:85], v[8:9]
	v_mul_f64 v[20:21], v[20:21], s[0:1]
	v_mul_f64 v[18:19], v[18:19], s[12:13]
	s_clause 0x1
	scratch_load_b32 v0, off, off offset:332
	scratch_load_b32 v1, off, off offset:336
	v_mul_f64 v[24:25], v[24:25], s[0:1]
	v_mul_f64 v[22:23], v[22:23], s[12:13]
	v_add_f64 v[12:13], v[16:17], v[12:13]
	v_add_f64 v[4:5], v[8:9], v[4:5]
	;; [unrolled: 1-line block ×3, first 2 shown]
	v_mul_f64 v[16:17], v[26:27], s[16:17]
	v_mul_f64 v[20:21], v[28:29], s[16:17]
	v_add_f64 v[24:25], v[32:33], -v[24:25]
	v_add_f64 v[10:11], v[12:13], v[10:11]
	v_add_f64 v[2:3], v[4:5], v[2:3]
	;; [unrolled: 1-line block ×3, first 2 shown]
	s_delay_alu instid0(VALU_DEP_4) | instskip(NEXT) | instid1(VALU_DEP_4)
	v_add_f64 v[22:23], v[24:25], -v[22:23]
	v_add_f64 v[8:9], v[10:11], v[14:15]
	s_delay_alu instid0(VALU_DEP_4) | instskip(NEXT) | instid1(VALU_DEP_4)
	v_add_f64 v[6:7], v[2:3], v[6:7]
	v_add_f64 v[2:3], v[16:17], v[12:13]
	scratch_load_b128 v[10:13], off, off    ; 16-byte Folded Reload
	v_add_f64 v[4:5], v[20:21], v[22:23]
	s_waitcnt vmcnt(1)
	v_mad_u16 v0, 0x55, v0, v1
	s_delay_alu instid0(VALU_DEP_1) | instskip(NEXT) | instid1(VALU_DEP_1)
	v_and_b32_e32 v0, 0xffff, v0
	v_lshlrev_b32_e32 v0, 4, v0
	s_waitcnt vmcnt(0)
	ds_store_b128 v0, v[10:13] offset:544
	scratch_load_b128 v[10:13], off, off offset:16 ; 16-byte Folded Reload
	s_waitcnt vmcnt(0)
	ds_store_b128 v0, v[10:13] offset:816
	ds_store_b128 v0, v[6:9]
	ds_store_b128 v0, v[2:5] offset:272
	scratch_load_b128 v[1:4], off, off offset:32 ; 16-byte Folded Reload
	s_waitcnt vmcnt(0)
	ds_store_b128 v0, v[1:4] offset:1088
.LBB0_5:
	s_or_b32 exec_lo, exec_lo, s8
	v_lshlrev_b32_e32 v0, 8, v52
	s_waitcnt lgkmcnt(0)
	s_waitcnt_vscnt null, 0x0
	s_barrier
	buffer_gl0_inv
	ds_load_b128 v[212:215], v36
	ds_load_b128 v[2:5], v36 offset:1360
	ds_load_b128 v[6:9], v36 offset:2720
	;; [unrolled: 1-line block ×16, first 2 shown]
	scratch_store_b32 off, v52, off offset:72 ; 4-byte Folded Spill
	s_clause 0x7
	global_load_b128 v[84:87], v0, s[10:11] offset:1136
	global_load_b128 v[88:91], v0, s[10:11] offset:1120
	global_load_b128 v[92:95], v0, s[10:11] offset:1104
	global_load_b128 v[132:135], v0, s[10:11] offset:1088
	global_load_b128 v[96:99], v0, s[10:11] offset:1200
	global_load_b128 v[100:103], v0, s[10:11] offset:1184
	global_load_b128 v[104:107], v0, s[10:11] offset:1168
	global_load_b128 v[112:115], v0, s[10:11] offset:1152
	s_mov_b32 s18, 0x7c9e640b
	s_mov_b32 s19, 0xbfeca52d
	;; [unrolled: 1-line block ×41, first 2 shown]
	s_waitcnt vmcnt(4) lgkmcnt(15)
	v_mul_f64 v[18:19], v[4:5], v[134:135]
	s_delay_alu instid0(VALU_DEP_1) | instskip(SKIP_1) | instid1(VALU_DEP_2)
	v_fma_f64 v[43:44], v[2:3], v[132:133], -v[18:19]
	v_mul_f64 v[2:3], v[2:3], v[134:135]
	v_add_f64 v[49:50], v[212:213], v[43:44]
	s_delay_alu instid0(VALU_DEP_2) | instskip(SKIP_2) | instid1(VALU_DEP_1)
	v_fma_f64 v[45:46], v[4:5], v[132:133], v[2:3]
	s_waitcnt lgkmcnt(14)
	v_mul_f64 v[2:3], v[8:9], v[94:95]
	v_fma_f64 v[24:25], v[6:7], v[92:93], -v[2:3]
	v_mul_f64 v[2:3], v[6:7], v[94:95]
	s_delay_alu instid0(VALU_DEP_2) | instskip(NEXT) | instid1(VALU_DEP_2)
	v_add_f64 v[49:50], v[49:50], v[24:25]
	v_fma_f64 v[26:27], v[8:9], v[92:93], v[2:3]
	s_waitcnt lgkmcnt(13)
	v_mul_f64 v[2:3], v[12:13], v[90:91]
	s_delay_alu instid0(VALU_DEP_1) | instskip(SKIP_1) | instid1(VALU_DEP_2)
	v_fma_f64 v[238:239], v[10:11], v[88:89], -v[2:3]
	v_mul_f64 v[2:3], v[10:11], v[90:91]
	v_add_f64 v[49:50], v[49:50], v[238:239]
	s_delay_alu instid0(VALU_DEP_2) | instskip(SKIP_2) | instid1(VALU_DEP_1)
	v_fma_f64 v[20:21], v[12:13], v[88:89], v[2:3]
	s_waitcnt lgkmcnt(12)
	v_mul_f64 v[2:3], v[16:17], v[86:87]
	v_fma_f64 v[232:233], v[14:15], v[84:85], -v[2:3]
	v_mul_f64 v[2:3], v[14:15], v[86:87]
	s_delay_alu instid0(VALU_DEP_2) | instskip(NEXT) | instid1(VALU_DEP_2)
	v_add_f64 v[49:50], v[49:50], v[232:233]
	v_fma_f64 v[230:231], v[16:17], v[84:85], v[2:3]
	s_waitcnt vmcnt(0) lgkmcnt(11)
	v_mul_f64 v[2:3], v[30:31], v[114:115]
	s_delay_alu instid0(VALU_DEP_1) | instskip(SKIP_1) | instid1(VALU_DEP_2)
	v_fma_f64 v[226:227], v[28:29], v[112:113], -v[2:3]
	v_mul_f64 v[2:3], v[28:29], v[114:115]
	v_add_f64 v[49:50], v[49:50], v[226:227]
	s_delay_alu instid0(VALU_DEP_2) | instskip(SKIP_2) | instid1(VALU_DEP_1)
	v_fma_f64 v[222:223], v[30:31], v[112:113], v[2:3]
	s_waitcnt lgkmcnt(10)
	v_mul_f64 v[2:3], v[34:35], v[106:107]
	v_fma_f64 v[218:219], v[32:33], v[104:105], -v[2:3]
	v_mul_f64 v[2:3], v[32:33], v[106:107]
	s_delay_alu instid0(VALU_DEP_2) | instskip(NEXT) | instid1(VALU_DEP_2)
	v_add_f64 v[49:50], v[49:50], v[218:219]
	v_fma_f64 v[18:19], v[34:35], v[104:105], v[2:3]
	s_waitcnt lgkmcnt(9)
	v_mul_f64 v[2:3], v[110:111], v[102:103]
	s_delay_alu instid0(VALU_DEP_1) | instskip(SKIP_1) | instid1(VALU_DEP_2)
	v_fma_f64 v[14:15], v[108:109], v[100:101], -v[2:3]
	v_mul_f64 v[2:3], v[108:109], v[102:103]
	v_add_f64 v[49:50], v[49:50], v[14:15]
	s_delay_alu instid0(VALU_DEP_2) | instskip(SKIP_2) | instid1(VALU_DEP_1)
	v_fma_f64 v[10:11], v[110:111], v[100:101], v[2:3]
	s_waitcnt lgkmcnt(8)
	v_mul_f64 v[2:3], v[118:119], v[98:99]
	v_fma_f64 v[6:7], v[116:117], v[96:97], -v[2:3]
	v_mul_f64 v[2:3], v[116:117], v[98:99]
	s_delay_alu instid0(VALU_DEP_2) | instskip(NEXT) | instid1(VALU_DEP_2)
	v_add_f64 v[49:50], v[49:50], v[6:7]
	v_fma_f64 v[2:3], v[118:119], v[96:97], v[2:3]
	s_clause 0x3
	global_load_b128 v[108:111], v0, s[10:11] offset:1264
	global_load_b128 v[116:119], v0, s[10:11] offset:1248
	;; [unrolled: 1-line block ×4, first 2 shown]
	s_waitcnt vmcnt(2) lgkmcnt(5)
	v_mul_f64 v[22:23], v[146:147], v[118:119]
	s_waitcnt vmcnt(1)
	v_mul_f64 v[12:13], v[138:139], v[122:123]
	s_waitcnt vmcnt(0)
	v_mul_f64 v[4:5], v[130:131], v[126:127]
	s_delay_alu instid0(VALU_DEP_3) | instskip(SKIP_1) | instid1(VALU_DEP_3)
	v_fma_f64 v[220:221], v[144:145], v[116:117], -v[22:23]
	v_mul_f64 v[22:23], v[144:145], v[118:119]
	v_fma_f64 v[8:9], v[128:129], v[124:125], -v[4:5]
	v_mul_f64 v[4:5], v[128:129], v[126:127]
	;; [unrolled: 2-line block ×3, first 2 shown]
	v_fma_f64 v[216:217], v[146:147], v[116:117], v[22:23]
	s_waitcnt lgkmcnt(4)
	v_mul_f64 v[22:23], v[166:167], v[110:111]
	v_fma_f64 v[4:5], v[130:131], v[124:125], v[4:5]
	v_add_f64 v[49:50], v[49:50], v[8:9]
	v_fma_f64 v[12:13], v[138:139], v[120:121], v[12:13]
	s_delay_alu instid0(VALU_DEP_4) | instskip(SKIP_1) | instid1(VALU_DEP_4)
	v_fma_f64 v[228:229], v[164:165], v[108:109], -v[22:23]
	v_mul_f64 v[22:23], v[164:165], v[110:111]
	v_add_f64 v[49:50], v[49:50], v[16:17]
	s_delay_alu instid0(VALU_DEP_2)
	v_fma_f64 v[224:225], v[166:167], v[108:109], v[22:23]
	s_clause 0x3
	global_load_b128 v[144:147], v0, s[10:11] offset:1328
	global_load_b128 v[136:139], v0, s[10:11] offset:1312
	;; [unrolled: 1-line block ×4, first 2 shown]
	v_add_f64 v[49:50], v[49:50], v[220:221]
	s_mov_b32 s10, 0xeb564b22
	s_mov_b32 s11, 0xbfefdd0d
	;; [unrolled: 1-line block ×3, first 2 shown]
	s_delay_alu instid0(VALU_DEP_1)
	v_add_f64 v[49:50], v[49:50], v[228:229]
	s_waitcnt vmcnt(3) lgkmcnt(0)
	v_mul_f64 v[34:35], v[210:211], v[146:147]
	v_mul_f64 v[47:48], v[208:209], v[146:147]
	s_waitcnt vmcnt(1)
	v_mul_f64 v[30:31], v[240:241], v[130:131]
	s_waitcnt vmcnt(0)
	v_mul_f64 v[22:23], v[236:237], v[166:167]
	v_mul_f64 v[28:29], v[234:235], v[166:167]
	v_fma_f64 v[34:35], v[208:209], v[144:145], -v[34:35]
	v_add_f64 v[208:209], v[214:215], v[45:46]
	v_fma_f64 v[47:48], v[210:211], v[144:145], v[47:48]
	v_fma_f64 v[22:23], v[234:235], v[164:165], -v[22:23]
	v_fma_f64 v[234:235], v[236:237], v[164:165], v[28:29]
	v_mul_f64 v[28:29], v[242:243], v[130:131]
	v_fma_f64 v[236:237], v[242:243], v[128:129], v[30:31]
	v_mul_f64 v[30:31], v[246:247], v[138:139]
	v_add_f64 v[208:209], v[208:209], v[26:27]
	v_add_f64 v[49:50], v[49:50], v[22:23]
	v_fma_f64 v[28:29], v[240:241], v[128:129], -v[28:29]
	v_add_f64 v[240:241], v[45:46], v[47:48]
	v_fma_f64 v[32:33], v[244:245], v[136:137], -v[30:31]
	v_mul_f64 v[30:31], v[244:245], v[138:139]
	v_add_f64 v[208:209], v[208:209], v[20:21]
	v_add_f64 v[49:50], v[49:50], v[28:29]
	s_delay_alu instid0(VALU_DEP_3) | instskip(NEXT) | instid1(VALU_DEP_3)
	v_fma_f64 v[30:31], v[246:247], v[136:137], v[30:31]
	v_add_f64 v[208:209], v[208:209], v[230:231]
	s_delay_alu instid0(VALU_DEP_3) | instskip(NEXT) | instid1(VALU_DEP_3)
	v_add_f64 v[49:50], v[49:50], v[32:33]
	v_add_f64 v[74:75], v[26:27], v[30:31]
	v_add_f64 v[26:27], v[26:27], -v[30:31]
	s_delay_alu instid0(VALU_DEP_4) | instskip(NEXT) | instid1(VALU_DEP_4)
	v_add_f64 v[208:209], v[208:209], v[222:223]
	v_add_f64 v[49:50], v[49:50], v[34:35]
	s_delay_alu instid0(VALU_DEP_2) | instskip(NEXT) | instid1(VALU_DEP_1)
	v_add_f64 v[208:209], v[208:209], v[18:19]
	v_add_f64 v[208:209], v[208:209], v[10:11]
	s_delay_alu instid0(VALU_DEP_1) | instskip(NEXT) | instid1(VALU_DEP_1)
	v_add_f64 v[208:209], v[208:209], v[2:3]
	v_add_f64 v[208:209], v[208:209], v[4:5]
	s_delay_alu instid0(VALU_DEP_1) | instskip(NEXT) | instid1(VALU_DEP_1)
	;; [unrolled: 3-line block ×4, first 2 shown]
	v_add_f64 v[208:209], v[208:209], v[236:237]
	v_add_f64 v[210:211], v[208:209], v[30:31]
	v_mul_f64 v[30:31], v[26:27], s[22:23]
	s_delay_alu instid0(VALU_DEP_2) | instskip(SKIP_4) | instid1(VALU_DEP_2)
	v_add_f64 v[51:52], v[210:211], v[47:48]
	scratch_store_b128 off, v[49:52], off offset:352 ; 16-byte Folded Spill
	v_add_f64 v[49:50], v[43:44], v[34:35]
	v_add_f64 v[34:35], v[43:44], -v[34:35]
	v_add_f64 v[43:44], v[45:46], -v[47:48]
	v_mul_f64 v[242:243], v[34:35], s[30:31]
	s_delay_alu instid0(VALU_DEP_2)
	v_mul_f64 v[254:255], v[43:44], s[18:19]
	v_mul_f64 v[45:46], v[43:44], s[30:31]
	;; [unrolled: 1-line block ×10, first 2 shown]
	v_fma_f64 v[244:245], v[240:241], s[28:29], v[242:243]
	v_fma_f64 v[51:52], v[49:50], s[16:17], -v[254:255]
	v_fma_f64 v[57:58], v[49:50], s[16:17], v[254:255]
	v_mul_f64 v[254:255], v[43:44], s[10:11]
	v_fma_f64 v[47:48], v[49:50], s[28:29], -v[45:46]
	v_fma_f64 v[45:46], v[49:50], s[28:29], v[45:46]
	v_fma_f64 v[248:249], v[49:50], s[20:21], -v[246:247]
	v_fma_f64 v[246:247], v[49:50], s[20:21], v[246:247]
	;; [unrolled: 2-line block ×9, first 2 shown]
	v_fma_f64 v[34:35], v[240:241], s[46:47], -v[34:35]
	v_add_f64 v[244:245], v[214:215], v[244:245]
	v_add_f64 v[51:52], v[212:213], v[51:52]
	;; [unrolled: 1-line block ×3, first 2 shown]
	v_fma_f64 v[59:60], v[49:50], s[8:9], -v[254:255]
	v_fma_f64 v[65:66], v[49:50], s[8:9], v[254:255]
	v_mul_f64 v[254:255], v[43:44], s[12:13]
	v_add_f64 v[47:48], v[212:213], v[47:48]
	v_add_f64 v[45:46], v[212:213], v[45:46]
	;; [unrolled: 1-line block ×21, first 2 shown]
	v_fma_f64 v[0:1], v[49:50], s[14:15], -v[254:255]
	v_fma_f64 v[210:211], v[49:50], s[14:15], v[254:255]
	v_mul_f64 v[254:255], v[43:44], s[24:25]
	s_delay_alu instid0(VALU_DEP_3) | instskip(NEXT) | instid1(VALU_DEP_3)
	v_add_f64 v[0:1], v[212:213], v[0:1]
	v_add_f64 v[210:211], v[212:213], v[210:211]
	s_delay_alu instid0(VALU_DEP_3) | instskip(SKIP_3) | instid1(VALU_DEP_4)
	v_fma_f64 v[196:197], v[49:50], s[26:27], -v[254:255]
	v_fma_f64 v[202:203], v[49:50], s[26:27], v[254:255]
	v_mul_f64 v[254:255], v[43:44], s[38:39]
	v_mul_f64 v[43:44], v[43:44], s[42:43]
	v_add_f64 v[196:197], v[212:213], v[196:197]
	s_delay_alu instid0(VALU_DEP_4) | instskip(NEXT) | instid1(VALU_DEP_4)
	v_add_f64 v[202:203], v[212:213], v[202:203]
	v_fma_f64 v[204:205], v[49:50], s[40:41], -v[254:255]
	v_fma_f64 v[70:71], v[49:50], s[40:41], v[254:255]
	v_fma_f64 v[254:255], v[49:50], s[46:47], -v[43:44]
	v_fma_f64 v[43:44], v[49:50], s[46:47], v[43:44]
	v_add_f64 v[49:50], v[24:25], v[32:33]
	v_add_f64 v[24:25], v[24:25], -v[32:33]
	v_add_f64 v[204:205], v[212:213], v[204:205]
	v_add_f64 v[70:71], v[212:213], v[70:71]
	;; [unrolled: 1-line block ×4, first 2 shown]
	v_fma_f64 v[32:33], v[49:50], s[20:21], -v[30:31]
	v_fma_f64 v[30:31], v[49:50], s[20:21], v[30:31]
	v_mul_f64 v[240:241], v[24:25], s[10:11]
	s_delay_alu instid0(VALU_DEP_3) | instskip(SKIP_1) | instid1(VALU_DEP_4)
	v_add_f64 v[32:33], v[32:33], v[47:48]
	v_mul_f64 v[47:48], v[24:25], s[22:23]
	v_add_f64 v[30:31], v[30:31], v[45:46]
	s_delay_alu instid0(VALU_DEP_2) | instskip(SKIP_2) | instid1(VALU_DEP_3)
	v_fma_f64 v[212:213], v[74:75], s[20:21], v[47:48]
	v_fma_f64 v[45:46], v[74:75], s[20:21], -v[47:48]
	v_mul_f64 v[47:48], v[26:27], s[10:11]
	v_add_f64 v[212:213], v[212:213], v[244:245]
	v_mul_f64 v[244:245], v[26:27], s[24:25]
	s_delay_alu instid0(VALU_DEP_3)
	v_fma_f64 v[214:215], v[49:50], s[8:9], -v[47:48]
	v_fma_f64 v[47:48], v[49:50], s[8:9], v[47:48]
	v_add_f64 v[45:46], v[45:46], v[242:243]
	v_fma_f64 v[242:243], v[74:75], s[8:9], v[240:241]
	v_fma_f64 v[240:241], v[74:75], s[8:9], -v[240:241]
	v_add_f64 v[214:215], v[214:215], v[248:249]
	v_add_f64 v[47:48], v[47:48], v[246:247]
	v_fma_f64 v[246:247], v[49:50], s[26:27], -v[244:245]
	v_fma_f64 v[244:245], v[49:50], s[26:27], v[244:245]
	v_add_f64 v[240:241], v[240:241], v[250:251]
	v_add_f64 v[242:243], v[242:243], v[252:253]
	s_delay_alu instid0(VALU_DEP_4) | instskip(SKIP_2) | instid1(VALU_DEP_2)
	v_add_f64 v[51:52], v[246:247], v[51:52]
	v_mul_f64 v[246:247], v[24:25], s[24:25]
	v_add_f64 v[57:58], v[244:245], v[57:58]
	v_fma_f64 v[244:245], v[74:75], s[26:27], -v[246:247]
	v_fma_f64 v[248:249], v[74:75], s[26:27], v[246:247]
	s_delay_alu instid0(VALU_DEP_2) | instskip(SKIP_1) | instid1(VALU_DEP_3)
	v_add_f64 v[53:54], v[244:245], v[53:54]
	v_mul_f64 v[244:245], v[26:27], s[42:43]
	v_add_f64 v[55:56], v[248:249], v[55:56]
	s_delay_alu instid0(VALU_DEP_2) | instskip(SKIP_1) | instid1(VALU_DEP_2)
	v_fma_f64 v[246:247], v[49:50], s[46:47], -v[244:245]
	v_fma_f64 v[244:245], v[49:50], s[46:47], v[244:245]
	v_add_f64 v[59:60], v[246:247], v[59:60]
	v_mul_f64 v[246:247], v[24:25], s[42:43]
	s_delay_alu instid0(VALU_DEP_3) | instskip(NEXT) | instid1(VALU_DEP_2)
	v_add_f64 v[65:66], v[244:245], v[65:66]
	v_fma_f64 v[244:245], v[74:75], s[46:47], -v[246:247]
	v_fma_f64 v[248:249], v[74:75], s[46:47], v[246:247]
	s_delay_alu instid0(VALU_DEP_2) | instskip(SKIP_1) | instid1(VALU_DEP_3)
	v_add_f64 v[61:62], v[244:245], v[61:62]
	v_mul_f64 v[244:245], v[26:27], s[44:45]
	v_add_f64 v[63:64], v[248:249], v[63:64]
	s_delay_alu instid0(VALU_DEP_2) | instskip(SKIP_1) | instid1(VALU_DEP_2)
	v_fma_f64 v[246:247], v[49:50], s[40:41], -v[244:245]
	v_fma_f64 v[244:245], v[49:50], s[40:41], v[244:245]
	v_add_f64 v[0:1], v[246:247], v[0:1]
	v_mul_f64 v[246:247], v[24:25], s[44:45]
	s_delay_alu instid0(VALU_DEP_3) | instskip(NEXT) | instid1(VALU_DEP_2)
	;; [unrolled: 13-line block ×3, first 2 shown]
	v_add_f64 v[202:203], v[244:245], v[202:203]
	v_fma_f64 v[244:245], v[74:75], s[14:15], -v[246:247]
	v_fma_f64 v[248:249], v[74:75], s[14:15], v[246:247]
	s_delay_alu instid0(VALU_DEP_2) | instskip(SKIP_2) | instid1(VALU_DEP_4)
	v_add_f64 v[198:199], v[244:245], v[198:199]
	v_mul_f64 v[244:245], v[26:27], s[36:37]
	v_mul_f64 v[26:27], v[26:27], s[48:49]
	v_add_f64 v[200:201], v[248:249], v[200:201]
	s_delay_alu instid0(VALU_DEP_3) | instskip(SKIP_1) | instid1(VALU_DEP_2)
	v_fma_f64 v[246:247], v[49:50], s[16:17], -v[244:245]
	v_fma_f64 v[244:245], v[49:50], s[16:17], v[244:245]
	v_add_f64 v[204:205], v[246:247], v[204:205]
	v_mul_f64 v[246:247], v[24:25], s[36:37]
	s_delay_alu instid0(VALU_DEP_3) | instskip(SKIP_1) | instid1(VALU_DEP_3)
	v_add_f64 v[70:71], v[244:245], v[70:71]
	v_mul_f64 v[24:25], v[24:25], s[48:49]
	v_fma_f64 v[244:245], v[74:75], s[16:17], -v[246:247]
	v_fma_f64 v[248:249], v[74:75], s[16:17], v[246:247]
	s_delay_alu instid0(VALU_DEP_3) | instskip(SKIP_1) | instid1(VALU_DEP_4)
	v_fma_f64 v[246:247], v[74:75], s[28:29], v[24:25]
	v_fma_f64 v[24:25], v[74:75], s[28:29], -v[24:25]
	v_add_f64 v[206:207], v[244:245], v[206:207]
	v_fma_f64 v[244:245], v[49:50], s[28:29], -v[26:27]
	v_fma_f64 v[26:27], v[49:50], s[28:29], v[26:27]
	s_delay_alu instid0(VALU_DEP_4)
	v_add_f64 v[24:25], v[24:25], v[34:35]
	v_add_f64 v[34:35], v[238:239], v[28:29]
	v_add_f64 v[28:29], v[238:239], -v[28:29]
	v_add_f64 v[72:73], v[246:247], v[72:73]
	v_add_f64 v[67:68], v[248:249], v[67:68]
	;; [unrolled: 1-line block ×5, first 2 shown]
	v_add_f64 v[20:21], v[20:21], -v[236:237]
	s_delay_alu instid0(VALU_DEP_1) | instskip(NEXT) | instid1(VALU_DEP_1)
	v_mul_f64 v[49:50], v[20:21], s[18:19]
	v_fma_f64 v[74:75], v[34:35], s[16:17], -v[49:50]
	v_fma_f64 v[49:50], v[34:35], s[16:17], v[49:50]
	s_delay_alu instid0(VALU_DEP_2) | instskip(SKIP_1) | instid1(VALU_DEP_3)
	v_add_f64 v[32:33], v[74:75], v[32:33]
	v_mul_f64 v[74:75], v[28:29], s[18:19]
	v_add_f64 v[30:31], v[49:50], v[30:31]
	s_delay_alu instid0(VALU_DEP_2) | instskip(SKIP_1) | instid1(VALU_DEP_2)
	v_fma_f64 v[49:50], v[43:44], s[16:17], -v[74:75]
	v_fma_f64 v[236:237], v[43:44], s[16:17], v[74:75]
	v_add_f64 v[45:46], v[49:50], v[45:46]
	v_mul_f64 v[49:50], v[20:21], s[24:25]
	s_delay_alu instid0(VALU_DEP_3) | instskip(NEXT) | instid1(VALU_DEP_2)
	v_add_f64 v[212:213], v[236:237], v[212:213]
	v_fma_f64 v[74:75], v[34:35], s[26:27], -v[49:50]
	v_fma_f64 v[49:50], v[34:35], s[26:27], v[49:50]
	s_delay_alu instid0(VALU_DEP_2) | instskip(SKIP_1) | instid1(VALU_DEP_3)
	v_add_f64 v[74:75], v[74:75], v[214:215]
	v_mul_f64 v[214:215], v[28:29], s[24:25]
	v_add_f64 v[47:48], v[49:50], v[47:48]
	s_delay_alu instid0(VALU_DEP_2) | instskip(SKIP_2) | instid1(VALU_DEP_3)
	v_fma_f64 v[236:237], v[43:44], s[26:27], v[214:215]
	v_fma_f64 v[49:50], v[43:44], s[26:27], -v[214:215]
	v_mul_f64 v[214:215], v[20:21], s[54:55]
	v_add_f64 v[236:237], v[236:237], v[242:243]
	s_delay_alu instid0(VALU_DEP_3) | instskip(NEXT) | instid1(VALU_DEP_3)
	v_add_f64 v[49:50], v[49:50], v[240:241]
	v_fma_f64 v[238:239], v[34:35], s[46:47], -v[214:215]
	v_fma_f64 v[214:215], v[34:35], s[46:47], v[214:215]
	v_add_f64 v[242:243], v[10:11], v[12:13]
	v_add_f64 v[10:11], v[10:11], -v[12:13]
	s_delay_alu instid0(VALU_DEP_4) | instskip(SKIP_2) | instid1(VALU_DEP_4)
	v_add_f64 v[51:52], v[238:239], v[51:52]
	v_mul_f64 v[238:239], v[28:29], s[54:55]
	v_add_f64 v[57:58], v[214:215], v[57:58]
	v_mul_f64 v[12:13], v[10:11], s[38:39]
	s_delay_alu instid0(VALU_DEP_3) | instskip(SKIP_1) | instid1(VALU_DEP_2)
	v_fma_f64 v[214:215], v[43:44], s[46:47], -v[238:239]
	v_fma_f64 v[240:241], v[43:44], s[46:47], v[238:239]
	v_add_f64 v[53:54], v[214:215], v[53:54]
	v_mul_f64 v[214:215], v[20:21], s[34:35]
	s_delay_alu instid0(VALU_DEP_3) | instskip(NEXT) | instid1(VALU_DEP_2)
	v_add_f64 v[55:56], v[240:241], v[55:56]
	v_fma_f64 v[238:239], v[34:35], s[14:15], -v[214:215]
	v_fma_f64 v[214:215], v[34:35], s[14:15], v[214:215]
	s_delay_alu instid0(VALU_DEP_2) | instskip(SKIP_1) | instid1(VALU_DEP_3)
	v_add_f64 v[59:60], v[238:239], v[59:60]
	v_mul_f64 v[238:239], v[28:29], s[34:35]
	v_add_f64 v[65:66], v[214:215], v[65:66]
	s_delay_alu instid0(VALU_DEP_2) | instskip(SKIP_1) | instid1(VALU_DEP_2)
	v_fma_f64 v[214:215], v[43:44], s[14:15], -v[238:239]
	v_fma_f64 v[240:241], v[43:44], s[14:15], v[238:239]
	v_add_f64 v[61:62], v[214:215], v[61:62]
	v_mul_f64 v[214:215], v[20:21], s[50:51]
	s_delay_alu instid0(VALU_DEP_3) | instskip(NEXT) | instid1(VALU_DEP_2)
	v_add_f64 v[63:64], v[240:241], v[63:64]
	v_fma_f64 v[238:239], v[34:35], s[20:21], -v[214:215]
	v_fma_f64 v[214:215], v[34:35], s[20:21], v[214:215]
	s_delay_alu instid0(VALU_DEP_2) | instskip(SKIP_1) | instid1(VALU_DEP_3)
	v_add_f64 v[0:1], v[238:239], v[0:1]
	v_mul_f64 v[238:239], v[28:29], s[50:51]
	v_add_f64 v[210:211], v[214:215], v[210:211]
	s_delay_alu instid0(VALU_DEP_2) | instskip(SKIP_1) | instid1(VALU_DEP_2)
	;; [unrolled: 13-line block ×3, first 2 shown]
	v_fma_f64 v[214:215], v[43:44], s[28:29], -v[238:239]
	v_fma_f64 v[240:241], v[43:44], s[28:29], v[238:239]
	v_add_f64 v[198:199], v[214:215], v[198:199]
	v_mul_f64 v[214:215], v[20:21], s[10:11]
	v_mul_f64 v[20:21], v[20:21], s[38:39]
	s_delay_alu instid0(VALU_DEP_4) | instskip(NEXT) | instid1(VALU_DEP_3)
	v_add_f64 v[200:201], v[240:241], v[200:201]
	v_fma_f64 v[238:239], v[34:35], s[8:9], -v[214:215]
	v_fma_f64 v[214:215], v[34:35], s[8:9], v[214:215]
	s_delay_alu instid0(VALU_DEP_2) | instskip(SKIP_1) | instid1(VALU_DEP_3)
	v_add_f64 v[204:205], v[238:239], v[204:205]
	v_mul_f64 v[238:239], v[28:29], s[10:11]
	v_add_f64 v[70:71], v[214:215], v[70:71]
	v_mul_f64 v[28:29], v[28:29], s[38:39]
	s_delay_alu instid0(VALU_DEP_3) | instskip(SKIP_1) | instid1(VALU_DEP_3)
	v_fma_f64 v[214:215], v[43:44], s[8:9], -v[238:239]
	v_fma_f64 v[240:241], v[43:44], s[8:9], v[238:239]
	v_fma_f64 v[238:239], v[43:44], s[40:41], v[28:29]
	s_delay_alu instid0(VALU_DEP_3)
	v_add_f64 v[206:207], v[214:215], v[206:207]
	v_fma_f64 v[214:215], v[34:35], s[40:41], -v[20:21]
	v_fma_f64 v[20:21], v[34:35], s[40:41], v[20:21]
	v_add_f64 v[34:35], v[230:231], -v[234:235]
	v_add_f64 v[72:73], v[238:239], v[72:73]
	v_add_f64 v[67:68], v[240:241], v[67:68]
	;; [unrolled: 1-line block ×4, first 2 shown]
	v_fma_f64 v[26:27], v[43:44], s[40:41], -v[28:29]
	v_mul_f64 v[43:44], v[34:35], s[10:11]
	v_add_f64 v[28:29], v[230:231], v[234:235]
	s_delay_alu instid0(VALU_DEP_3) | instskip(SKIP_2) | instid1(VALU_DEP_2)
	v_add_f64 v[24:25], v[26:27], v[24:25]
	v_add_f64 v[26:27], v[232:233], v[22:23]
	v_add_f64 v[22:23], v[232:233], -v[22:23]
	v_fma_f64 v[230:231], v[26:27], s[8:9], -v[43:44]
	v_fma_f64 v[43:44], v[26:27], s[8:9], v[43:44]
	s_delay_alu instid0(VALU_DEP_2) | instskip(NEXT) | instid1(VALU_DEP_4)
	v_add_f64 v[32:33], v[230:231], v[32:33]
	v_mul_f64 v[230:231], v[22:23], s[10:11]
	s_delay_alu instid0(VALU_DEP_3) | instskip(NEXT) | instid1(VALU_DEP_2)
	v_add_f64 v[30:31], v[43:44], v[30:31]
	v_fma_f64 v[43:44], v[28:29], s[8:9], -v[230:231]
	v_fma_f64 v[232:233], v[28:29], s[8:9], v[230:231]
	s_delay_alu instid0(VALU_DEP_2) | instskip(SKIP_1) | instid1(VALU_DEP_3)
	v_add_f64 v[43:44], v[43:44], v[45:46]
	v_mul_f64 v[45:46], v[34:35], s[42:43]
	v_add_f64 v[212:213], v[232:233], v[212:213]
	s_delay_alu instid0(VALU_DEP_2) | instskip(SKIP_1) | instid1(VALU_DEP_2)
	v_fma_f64 v[230:231], v[26:27], s[46:47], -v[45:46]
	v_fma_f64 v[45:46], v[26:27], s[46:47], v[45:46]
	v_add_f64 v[74:75], v[230:231], v[74:75]
	v_mul_f64 v[230:231], v[22:23], s[42:43]
	s_delay_alu instid0(VALU_DEP_3) | instskip(NEXT) | instid1(VALU_DEP_2)
	v_add_f64 v[45:46], v[45:46], v[47:48]
	v_fma_f64 v[47:48], v[28:29], s[46:47], -v[230:231]
	v_fma_f64 v[232:233], v[28:29], s[46:47], v[230:231]
	s_delay_alu instid0(VALU_DEP_2) | instskip(SKIP_1) | instid1(VALU_DEP_3)
	v_add_f64 v[47:48], v[47:48], v[49:50]
	v_mul_f64 v[49:50], v[34:35], s[34:35]
	v_add_f64 v[232:233], v[232:233], v[236:237]
	s_delay_alu instid0(VALU_DEP_2) | instskip(SKIP_1) | instid1(VALU_DEP_2)
	v_fma_f64 v[230:231], v[26:27], s[14:15], -v[49:50]
	v_fma_f64 v[49:50], v[26:27], s[14:15], v[49:50]
	;; [unrolled: 13-line block ×5, first 2 shown]
	v_add_f64 v[196:197], v[230:231], v[196:197]
	v_mul_f64 v[230:231], v[22:23], s[38:39]
	s_delay_alu instid0(VALU_DEP_3) | instskip(NEXT) | instid1(VALU_DEP_2)
	v_add_f64 v[202:203], v[210:211], v[202:203]
	v_fma_f64 v[210:211], v[28:29], s[40:41], -v[230:231]
	v_fma_f64 v[234:235], v[28:29], s[40:41], v[230:231]
	s_delay_alu instid0(VALU_DEP_2) | instskip(SKIP_2) | instid1(VALU_DEP_4)
	v_add_f64 v[198:199], v[210:211], v[198:199]
	v_mul_f64 v[210:211], v[34:35], s[56:57]
	v_mul_f64 v[34:35], v[34:35], s[50:51]
	v_add_f64 v[200:201], v[234:235], v[200:201]
	s_delay_alu instid0(VALU_DEP_3) | instskip(SKIP_1) | instid1(VALU_DEP_2)
	v_fma_f64 v[230:231], v[26:27], s[26:27], -v[210:211]
	v_fma_f64 v[210:211], v[26:27], s[26:27], v[210:211]
	v_add_f64 v[204:205], v[230:231], v[204:205]
	v_mul_f64 v[230:231], v[22:23], s[56:57]
	s_delay_alu instid0(VALU_DEP_3) | instskip(SKIP_1) | instid1(VALU_DEP_3)
	v_add_f64 v[70:71], v[210:211], v[70:71]
	v_mul_f64 v[22:23], v[22:23], s[50:51]
	v_fma_f64 v[210:211], v[28:29], s[26:27], -v[230:231]
	v_fma_f64 v[234:235], v[28:29], s[26:27], v[230:231]
	s_delay_alu instid0(VALU_DEP_2) | instskip(SKIP_4) | instid1(VALU_DEP_4)
	v_add_f64 v[206:207], v[210:211], v[206:207]
	v_fma_f64 v[210:211], v[26:27], s[20:21], -v[34:35]
	v_fma_f64 v[26:27], v[26:27], s[20:21], v[34:35]
	v_add_f64 v[34:35], v[222:223], -v[224:225]
	v_add_f64 v[67:68], v[234:235], v[67:68]
	v_add_f64 v[210:211], v[210:211], v[214:215]
	v_fma_f64 v[214:215], v[28:29], s[20:21], v[22:23]
	v_fma_f64 v[22:23], v[28:29], s[20:21], -v[22:23]
	v_add_f64 v[20:21], v[26:27], v[20:21]
	v_add_f64 v[26:27], v[222:223], v[224:225]
	v_add_f64 v[28:29], v[226:227], -v[228:229]
	v_add_f64 v[72:73], v[214:215], v[72:73]
	v_add_f64 v[22:23], v[22:23], v[24:25]
	;; [unrolled: 1-line block ×3, first 2 shown]
	v_mul_f64 v[214:215], v[34:35], s[12:13]
	s_delay_alu instid0(VALU_DEP_1) | instskip(SKIP_1) | instid1(VALU_DEP_2)
	v_fma_f64 v[222:223], v[24:25], s[14:15], -v[214:215]
	v_fma_f64 v[214:215], v[24:25], s[14:15], v[214:215]
	v_add_f64 v[32:33], v[222:223], v[32:33]
	v_mul_f64 v[222:223], v[28:29], s[12:13]
	s_delay_alu instid0(VALU_DEP_3) | instskip(NEXT) | instid1(VALU_DEP_2)
	v_add_f64 v[30:31], v[214:215], v[30:31]
	v_fma_f64 v[214:215], v[26:27], s[14:15], -v[222:223]
	v_fma_f64 v[224:225], v[26:27], s[14:15], v[222:223]
	s_delay_alu instid0(VALU_DEP_2) | instskip(SKIP_1) | instid1(VALU_DEP_3)
	v_add_f64 v[43:44], v[214:215], v[43:44]
	v_mul_f64 v[214:215], v[34:35], s[44:45]
	v_add_f64 v[212:213], v[224:225], v[212:213]
	s_delay_alu instid0(VALU_DEP_2) | instskip(SKIP_1) | instid1(VALU_DEP_2)
	v_fma_f64 v[222:223], v[24:25], s[40:41], -v[214:215]
	v_fma_f64 v[214:215], v[24:25], s[40:41], v[214:215]
	v_add_f64 v[74:75], v[222:223], v[74:75]
	v_mul_f64 v[222:223], v[28:29], s[44:45]
	s_delay_alu instid0(VALU_DEP_3) | instskip(NEXT) | instid1(VALU_DEP_2)
	v_add_f64 v[45:46], v[214:215], v[45:46]
	v_fma_f64 v[214:215], v[26:27], s[40:41], -v[222:223]
	v_fma_f64 v[224:225], v[26:27], s[40:41], v[222:223]
	s_delay_alu instid0(VALU_DEP_2) | instskip(SKIP_1) | instid1(VALU_DEP_3)
	v_add_f64 v[47:48], v[214:215], v[47:48]
	v_mul_f64 v[214:215], v[34:35], s[50:51]
	v_add_f64 v[224:225], v[224:225], v[232:233]
	s_delay_alu instid0(VALU_DEP_2) | instskip(SKIP_1) | instid1(VALU_DEP_2)
	;; [unrolled: 13-line block ×5, first 2 shown]
	v_fma_f64 v[222:223], v[24:25], s[8:9], -v[214:215]
	v_fma_f64 v[214:215], v[24:25], s[8:9], v[214:215]
	v_add_f64 v[196:197], v[222:223], v[196:197]
	v_mul_f64 v[222:223], v[28:29], s[52:53]
	s_delay_alu instid0(VALU_DEP_3) | instskip(NEXT) | instid1(VALU_DEP_2)
	v_add_f64 v[202:203], v[214:215], v[202:203]
	v_fma_f64 v[214:215], v[26:27], s[8:9], -v[222:223]
	v_fma_f64 v[226:227], v[26:27], s[8:9], v[222:223]
	s_delay_alu instid0(VALU_DEP_2) | instskip(SKIP_2) | instid1(VALU_DEP_4)
	v_add_f64 v[198:199], v[214:215], v[198:199]
	v_mul_f64 v[214:215], v[34:35], s[30:31]
	v_mul_f64 v[34:35], v[34:35], s[24:25]
	v_add_f64 v[200:201], v[226:227], v[200:201]
	s_delay_alu instid0(VALU_DEP_3) | instskip(SKIP_1) | instid1(VALU_DEP_2)
	v_fma_f64 v[222:223], v[24:25], s[28:29], -v[214:215]
	v_fma_f64 v[214:215], v[24:25], s[28:29], v[214:215]
	v_add_f64 v[204:205], v[222:223], v[204:205]
	v_mul_f64 v[222:223], v[28:29], s[30:31]
	s_delay_alu instid0(VALU_DEP_3) | instskip(SKIP_1) | instid1(VALU_DEP_3)
	v_add_f64 v[70:71], v[214:215], v[70:71]
	v_mul_f64 v[28:29], v[28:29], s[24:25]
	v_fma_f64 v[214:215], v[26:27], s[28:29], -v[222:223]
	v_fma_f64 v[226:227], v[26:27], s[28:29], v[222:223]
	s_delay_alu instid0(VALU_DEP_2) | instskip(SKIP_2) | instid1(VALU_DEP_4)
	v_add_f64 v[206:207], v[214:215], v[206:207]
	v_fma_f64 v[214:215], v[24:25], s[26:27], -v[34:35]
	v_fma_f64 v[24:25], v[24:25], s[26:27], v[34:35]
	v_add_f64 v[67:68], v[226:227], v[67:68]
	s_delay_alu instid0(VALU_DEP_3) | instskip(SKIP_1) | instid1(VALU_DEP_4)
	v_add_f64 v[210:211], v[214:215], v[210:211]
	v_fma_f64 v[214:215], v[26:27], s[26:27], v[28:29]
	v_add_f64 v[20:21], v[24:25], v[20:21]
	v_fma_f64 v[24:25], v[26:27], s[26:27], -v[28:29]
	v_add_f64 v[26:27], v[18:19], v[216:217]
	v_add_f64 v[18:19], v[18:19], -v[216:217]
	v_add_f64 v[28:29], v[218:219], -v[220:221]
	v_add_f64 v[72:73], v[214:215], v[72:73]
	v_add_f64 v[22:23], v[24:25], v[22:23]
	v_add_f64 v[24:25], v[218:219], v[220:221]
	v_mul_f64 v[34:35], v[18:19], s[24:25]
	s_delay_alu instid0(VALU_DEP_1) | instskip(SKIP_1) | instid1(VALU_DEP_2)
	v_fma_f64 v[214:215], v[24:25], s[26:27], -v[34:35]
	v_fma_f64 v[34:35], v[24:25], s[26:27], v[34:35]
	v_add_f64 v[32:33], v[214:215], v[32:33]
	v_mul_f64 v[214:215], v[28:29], s[24:25]
	s_delay_alu instid0(VALU_DEP_3) | instskip(NEXT) | instid1(VALU_DEP_2)
	v_add_f64 v[30:31], v[34:35], v[30:31]
	v_fma_f64 v[34:35], v[26:27], s[26:27], -v[214:215]
	v_fma_f64 v[216:217], v[26:27], s[26:27], v[214:215]
	s_delay_alu instid0(VALU_DEP_2) | instskip(SKIP_1) | instid1(VALU_DEP_3)
	v_add_f64 v[34:35], v[34:35], v[43:44]
	v_mul_f64 v[43:44], v[18:19], s[34:35]
	v_add_f64 v[212:213], v[216:217], v[212:213]
	s_delay_alu instid0(VALU_DEP_2) | instskip(SKIP_1) | instid1(VALU_DEP_2)
	v_fma_f64 v[214:215], v[24:25], s[14:15], -v[43:44]
	v_fma_f64 v[43:44], v[24:25], s[14:15], v[43:44]
	v_add_f64 v[74:75], v[214:215], v[74:75]
	v_mul_f64 v[214:215], v[28:29], s[34:35]
	s_delay_alu instid0(VALU_DEP_3) | instskip(NEXT) | instid1(VALU_DEP_2)
	v_add_f64 v[43:44], v[43:44], v[45:46]
	v_fma_f64 v[45:46], v[26:27], s[14:15], -v[214:215]
	v_fma_f64 v[216:217], v[26:27], s[14:15], v[214:215]
	s_delay_alu instid0(VALU_DEP_2) | instskip(SKIP_1) | instid1(VALU_DEP_3)
	v_add_f64 v[45:46], v[45:46], v[47:48]
	v_mul_f64 v[47:48], v[18:19], s[30:31]
	v_add_f64 v[216:217], v[216:217], v[224:225]
	s_delay_alu instid0(VALU_DEP_2) | instskip(SKIP_1) | instid1(VALU_DEP_2)
	;; [unrolled: 13-line block ×5, first 2 shown]
	v_fma_f64 v[214:215], v[24:25], s[20:21], -v[65:66]
	v_fma_f64 v[65:66], v[24:25], s[20:21], v[65:66]
	v_add_f64 v[196:197], v[214:215], v[196:197]
	v_mul_f64 v[214:215], v[28:29], s[22:23]
	s_delay_alu instid0(VALU_DEP_3) | instskip(NEXT) | instid1(VALU_DEP_2)
	v_add_f64 v[65:66], v[65:66], v[202:203]
	v_fma_f64 v[202:203], v[26:27], s[20:21], -v[214:215]
	v_fma_f64 v[218:219], v[26:27], s[20:21], v[214:215]
	s_delay_alu instid0(VALU_DEP_2) | instskip(SKIP_1) | instid1(VALU_DEP_3)
	v_add_f64 v[198:199], v[202:203], v[198:199]
	v_mul_f64 v[202:203], v[18:19], s[42:43]
	v_add_f64 v[200:201], v[218:219], v[200:201]
	v_mul_f64 v[18:19], v[18:19], s[36:37]
	s_delay_alu instid0(VALU_DEP_3) | instskip(SKIP_1) | instid1(VALU_DEP_2)
	v_fma_f64 v[214:215], v[24:25], s[46:47], -v[202:203]
	v_fma_f64 v[202:203], v[24:25], s[46:47], v[202:203]
	v_add_f64 v[204:205], v[214:215], v[204:205]
	v_mul_f64 v[214:215], v[28:29], s[42:43]
	s_delay_alu instid0(VALU_DEP_3) | instskip(SKIP_1) | instid1(VALU_DEP_3)
	v_add_f64 v[70:71], v[202:203], v[70:71]
	v_mul_f64 v[28:29], v[28:29], s[36:37]
	v_fma_f64 v[218:219], v[26:27], s[46:47], v[214:215]
	v_fma_f64 v[202:203], v[26:27], s[46:47], -v[214:215]
	s_delay_alu instid0(VALU_DEP_2) | instskip(SKIP_2) | instid1(VALU_DEP_4)
	v_add_f64 v[67:68], v[218:219], v[67:68]
	v_add_f64 v[218:219], v[14:15], v[16:17]
	v_add_f64 v[14:15], v[14:15], -v[16:17]
	v_add_f64 v[202:203], v[202:203], v[206:207]
	v_fma_f64 v[206:207], v[24:25], s[16:17], -v[18:19]
	v_fma_f64 v[18:19], v[24:25], s[16:17], v[18:19]
	v_fma_f64 v[16:17], v[218:219], s[40:41], -v[12:13]
	v_fma_f64 v[12:13], v[218:219], s[40:41], v[12:13]
	s_delay_alu instid0(VALU_DEP_4) | instskip(SKIP_1) | instid1(VALU_DEP_4)
	v_add_f64 v[206:207], v[206:207], v[210:211]
	v_fma_f64 v[210:211], v[26:27], s[16:17], v[28:29]
	v_add_f64 v[76:77], v[16:17], v[32:33]
	v_mul_f64 v[16:17], v[14:15], s[38:39]
	v_add_f64 v[80:81], v[12:13], v[30:31]
	s_delay_alu instid0(VALU_DEP_4) | instskip(SKIP_3) | instid1(VALU_DEP_2)
	v_add_f64 v[72:73], v[210:211], v[72:73]
	v_add_f64 v[210:211], v[18:19], v[20:21]
	v_fma_f64 v[18:19], v[26:27], s[16:17], -v[28:29]
	v_fma_f64 v[12:13], v[242:243], s[40:41], -v[16:17]
	v_add_f64 v[214:215], v[18:19], v[22:23]
	v_fma_f64 v[18:19], v[242:243], s[40:41], v[16:17]
	s_delay_alu instid0(VALU_DEP_3) | instskip(SKIP_1) | instid1(VALU_DEP_3)
	v_add_f64 v[82:83], v[12:13], v[34:35]
	v_mul_f64 v[12:13], v[10:11], s[36:37]
	v_add_f64 v[78:79], v[18:19], v[212:213]
	s_delay_alu instid0(VALU_DEP_2) | instskip(SKIP_1) | instid1(VALU_DEP_2)
	v_fma_f64 v[16:17], v[218:219], s[16:17], -v[12:13]
	v_fma_f64 v[12:13], v[218:219], s[16:17], v[12:13]
	v_add_f64 v[220:221], v[16:17], v[74:75]
	v_mul_f64 v[16:17], v[14:15], s[36:37]
	s_delay_alu instid0(VALU_DEP_3) | instskip(NEXT) | instid1(VALU_DEP_2)
	v_add_f64 v[224:225], v[12:13], v[43:44]
	v_fma_f64 v[12:13], v[242:243], s[16:17], -v[16:17]
	v_fma_f64 v[18:19], v[242:243], s[16:17], v[16:17]
	s_delay_alu instid0(VALU_DEP_2) | instskip(SKIP_1) | instid1(VALU_DEP_3)
	v_add_f64 v[226:227], v[12:13], v[45:46]
	v_mul_f64 v[12:13], v[10:11], s[10:11]
	v_add_f64 v[222:223], v[18:19], v[216:217]
	s_delay_alu instid0(VALU_DEP_2) | instskip(SKIP_1) | instid1(VALU_DEP_2)
	v_fma_f64 v[16:17], v[218:219], s[8:9], -v[12:13]
	v_fma_f64 v[12:13], v[218:219], s[8:9], v[12:13]
	v_add_f64 v[228:229], v[16:17], v[51:52]
	v_mul_f64 v[16:17], v[14:15], s[10:11]
	s_delay_alu instid0(VALU_DEP_3) | instskip(NEXT) | instid1(VALU_DEP_2)
	v_add_f64 v[232:233], v[12:13], v[47:48]
	v_fma_f64 v[12:13], v[242:243], s[8:9], -v[16:17]
	v_fma_f64 v[18:19], v[242:243], s[8:9], v[16:17]
	s_delay_alu instid0(VALU_DEP_2) | instskip(SKIP_1) | instid1(VALU_DEP_3)
	;; [unrolled: 13-line block ×3, first 2 shown]
	v_add_f64 v[34:35], v[12:13], v[57:58]
	v_mul_f64 v[12:13], v[10:11], s[30:31]
	v_add_f64 v[238:239], v[18:19], v[63:64]
	s_delay_alu instid0(VALU_DEP_2) | instskip(SKIP_1) | instid1(VALU_DEP_2)
	v_fma_f64 v[16:17], v[218:219], s[28:29], -v[12:13]
	v_fma_f64 v[12:13], v[218:219], s[28:29], v[12:13]
	v_add_f64 v[30:31], v[16:17], v[0:1]
	v_mul_f64 v[0:1], v[14:15], s[30:31]
	s_delay_alu instid0(VALU_DEP_3) | instskip(NEXT) | instid1(VALU_DEP_2)
	v_add_f64 v[28:29], v[12:13], v[61:62]
	v_fma_f64 v[16:17], v[242:243], s[28:29], v[0:1]
	v_fma_f64 v[0:1], v[242:243], s[28:29], -v[0:1]
	s_delay_alu instid0(VALU_DEP_2) | instskip(NEXT) | instid1(VALU_DEP_2)
	v_add_f64 v[32:33], v[16:17], v[208:209]
	v_add_f64 v[26:27], v[0:1], v[40:41]
	v_mul_f64 v[0:1], v[10:11], s[42:43]
	s_delay_alu instid0(VALU_DEP_1) | instskip(SKIP_1) | instid1(VALU_DEP_2)
	v_fma_f64 v[12:13], v[218:219], s[46:47], -v[0:1]
	v_fma_f64 v[0:1], v[218:219], s[46:47], v[0:1]
	v_add_f64 v[254:255], v[12:13], v[196:197]
	v_mul_f64 v[12:13], v[14:15], s[42:43]
	s_delay_alu instid0(VALU_DEP_3) | instskip(NEXT) | instid1(VALU_DEP_2)
	v_add_f64 v[252:253], v[0:1], v[65:66]
	v_fma_f64 v[0:1], v[242:243], s[46:47], -v[12:13]
	v_fma_f64 v[16:17], v[242:243], s[46:47], v[12:13]
	s_delay_alu instid0(VALU_DEP_2) | instskip(SKIP_1) | instid1(VALU_DEP_3)
	v_add_f64 v[250:251], v[0:1], v[198:199]
	v_mul_f64 v[0:1], v[10:11], s[50:51]
	v_add_f64 v[24:25], v[16:17], v[200:201]
	s_delay_alu instid0(VALU_DEP_2) | instskip(SKIP_1) | instid1(VALU_DEP_2)
	v_fma_f64 v[12:13], v[218:219], s[20:21], -v[0:1]
	v_fma_f64 v[0:1], v[218:219], s[20:21], v[0:1]
	v_add_f64 v[246:247], v[12:13], v[204:205]
	v_mul_f64 v[12:13], v[14:15], s[50:51]
	s_delay_alu instid0(VALU_DEP_3) | instskip(NEXT) | instid1(VALU_DEP_2)
	v_add_f64 v[244:245], v[0:1], v[70:71]
	v_fma_f64 v[0:1], v[242:243], s[20:21], -v[12:13]
	v_fma_f64 v[16:17], v[242:243], s[20:21], v[12:13]
	s_delay_alu instid0(VALU_DEP_2) | instskip(SKIP_1) | instid1(VALU_DEP_3)
	v_add_f64 v[22:23], v[0:1], v[202:203]
	v_mul_f64 v[0:1], v[10:11], s[12:13]
	v_add_f64 v[248:249], v[16:17], v[67:68]
	v_add_f64 v[16:17], v[6:7], v[8:9]
	v_add_f64 v[6:7], v[6:7], -v[8:9]
	s_delay_alu instid0(VALU_DEP_4) | instskip(SKIP_1) | instid1(VALU_DEP_2)
	v_fma_f64 v[10:11], v[218:219], s[14:15], -v[0:1]
	v_fma_f64 v[0:1], v[218:219], s[14:15], v[0:1]
	v_add_f64 v[20:21], v[10:11], v[206:207]
	v_mul_f64 v[10:11], v[14:15], s[12:13]
	s_delay_alu instid0(VALU_DEP_3) | instskip(NEXT) | instid1(VALU_DEP_2)
	v_add_f64 v[14:15], v[0:1], v[210:211]
	v_fma_f64 v[12:13], v[242:243], s[14:15], v[10:11]
	v_fma_f64 v[0:1], v[242:243], s[14:15], -v[10:11]
	s_delay_alu instid0(VALU_DEP_2) | instskip(SKIP_2) | instid1(VALU_DEP_4)
	v_add_f64 v[18:19], v[12:13], v[72:73]
	v_add_f64 v[12:13], v[2:3], v[4:5]
	v_add_f64 v[2:3], v[2:3], -v[4:5]
	v_add_f64 v[10:11], v[0:1], v[214:215]
	s_delay_alu instid0(VALU_DEP_2) | instskip(NEXT) | instid1(VALU_DEP_1)
	v_mul_f64 v[0:1], v[2:3], s[42:43]
	v_fma_f64 v[4:5], v[16:17], s[46:47], -v[0:1]
	v_fma_f64 v[0:1], v[16:17], s[46:47], v[0:1]
	s_delay_alu instid0(VALU_DEP_2) | instskip(SKIP_1) | instid1(VALU_DEP_3)
	v_add_f64 v[212:213], v[4:5], v[76:77]
	v_mul_f64 v[4:5], v[6:7], s[42:43]
	v_add_f64 v[216:217], v[0:1], v[80:81]
	s_delay_alu instid0(VALU_DEP_2) | instskip(SKIP_1) | instid1(VALU_DEP_2)
	v_fma_f64 v[0:1], v[12:13], s[46:47], -v[4:5]
	v_fma_f64 v[8:9], v[12:13], s[46:47], v[4:5]
	v_add_f64 v[218:219], v[0:1], v[82:83]
	v_mul_f64 v[0:1], v[2:3], s[48:49]
	s_delay_alu instid0(VALU_DEP_3) | instskip(NEXT) | instid1(VALU_DEP_2)
	v_add_f64 v[214:215], v[8:9], v[78:79]
	v_fma_f64 v[4:5], v[16:17], s[28:29], -v[0:1]
	v_fma_f64 v[0:1], v[16:17], s[28:29], v[0:1]
	s_delay_alu instid0(VALU_DEP_2) | instskip(SKIP_1) | instid1(VALU_DEP_3)
	v_add_f64 v[220:221], v[4:5], v[220:221]
	v_mul_f64 v[4:5], v[6:7], s[48:49]
	v_add_f64 v[224:225], v[0:1], v[224:225]
	s_delay_alu instid0(VALU_DEP_2) | instskip(SKIP_1) | instid1(VALU_DEP_2)
	v_fma_f64 v[0:1], v[12:13], s[28:29], -v[4:5]
	v_fma_f64 v[8:9], v[12:13], s[28:29], v[4:5]
	v_add_f64 v[226:227], v[0:1], v[226:227]
	v_mul_f64 v[0:1], v[2:3], s[38:39]
	s_delay_alu instid0(VALU_DEP_3) | instskip(NEXT) | instid1(VALU_DEP_2)
	v_add_f64 v[222:223], v[8:9], v[222:223]
	;; [unrolled: 13-line block ×6, first 2 shown]
	v_fma_f64 v[4:5], v[16:17], s[14:15], -v[0:1]
	v_fma_f64 v[0:1], v[16:17], s[14:15], v[0:1]
	s_delay_alu instid0(VALU_DEP_2) | instskip(SKIP_1) | instid1(VALU_DEP_3)
	v_add_f64 v[246:247], v[4:5], v[246:247]
	v_mul_f64 v[4:5], v[6:7], s[12:13]
	v_add_f64 v[47:48], v[0:1], v[244:245]
	s_delay_alu instid0(VALU_DEP_2) | instskip(SKIP_1) | instid1(VALU_DEP_2)
	v_fma_f64 v[0:1], v[12:13], s[14:15], -v[4:5]
	v_fma_f64 v[8:9], v[12:13], s[14:15], v[4:5]
	v_add_f64 v[49:50], v[0:1], v[22:23]
	v_mul_f64 v[0:1], v[2:3], s[52:53]
	s_delay_alu instid0(VALU_DEP_3) | instskip(SKIP_1) | instid1(VALU_DEP_3)
	v_add_f64 v[248:249], v[8:9], v[248:249]
	v_mul_f64 v[8:9], v[6:7], s[52:53]
	v_fma_f64 v[2:3], v[16:17], s[8:9], -v[0:1]
	v_fma_f64 v[0:1], v[16:17], s[8:9], v[0:1]
	s_delay_alu instid0(VALU_DEP_3) | instskip(NEXT) | instid1(VALU_DEP_3)
	v_fma_f64 v[4:5], v[12:13], s[8:9], v[8:9]
	v_add_f64 v[2:3], v[2:3], v[20:21]
	s_delay_alu instid0(VALU_DEP_3) | instskip(SKIP_1) | instid1(VALU_DEP_4)
	v_add_f64 v[6:7], v[0:1], v[14:15]
	v_fma_f64 v[0:1], v[12:13], s[8:9], -v[8:9]
	v_add_f64 v[4:5], v[4:5], v[18:19]
	s_delay_alu instid0(VALU_DEP_2)
	v_add_f64 v[8:9], v[0:1], v[10:11]
	scratch_load_b128 v[10:13], off, off offset:352 ; 16-byte Folded Reload
	s_waitcnt vmcnt(0)
	ds_store_b128 v36, v[10:13]
	ds_store_b128 v36, v[212:215] offset:1360
	ds_store_b128 v36, v[220:223] offset:2720
	;; [unrolled: 1-line block ×16, first 2 shown]
	s_waitcnt lgkmcnt(0)
	s_waitcnt_vscnt null, 0x0
	s_barrier
	buffer_gl0_inv
	scratch_load_b64 v[0:1], off, off offset:344 ; 8-byte Folded Reload
	ds_load_b128 v[2:5], v36
	v_add_co_u32 v12, s0, 0x5a50, v39
	s_delay_alu instid0(VALU_DEP_1) | instskip(SKIP_4) | instid1(VALU_DEP_1)
	v_add_co_ci_u32_e64 v13, s0, 0, v37, s0
	s_waitcnt vmcnt(0)
	global_load_b128 v[6:9], v[0:1], off offset:2640
	s_waitcnt vmcnt(0) lgkmcnt(0)
	v_mul_f64 v[0:1], v[4:5], v[8:9]
	v_fma_f64 v[0:1], v[2:3], v[6:7], -v[0:1]
	v_mul_f64 v[2:3], v[2:3], v[8:9]
	s_delay_alu instid0(VALU_DEP_1)
	v_fma_f64 v[2:3], v[4:5], v[6:7], v[2:3]
	global_load_b128 v[4:7], v[12:13], off offset:1360
	ds_store_b128 v36, v[0:3]
	ds_load_b128 v[0:3], v36 offset:1360
	s_waitcnt vmcnt(0) lgkmcnt(0)
	v_mul_f64 v[8:9], v[2:3], v[6:7]
	s_delay_alu instid0(VALU_DEP_1) | instskip(SKIP_1) | instid1(VALU_DEP_1)
	v_fma_f64 v[8:9], v[0:1], v[4:5], -v[8:9]
	v_mul_f64 v[0:1], v[0:1], v[6:7]
	v_fma_f64 v[10:11], v[2:3], v[4:5], v[0:1]
	global_load_b128 v[4:7], v[12:13], off offset:2720
	ds_load_b128 v[0:3], v36 offset:2720
	ds_store_b128 v36, v[8:11] offset:1360
	s_waitcnt vmcnt(0) lgkmcnt(1)
	v_mul_f64 v[8:9], v[2:3], v[6:7]
	s_delay_alu instid0(VALU_DEP_1) | instskip(SKIP_1) | instid1(VALU_DEP_1)
	v_fma_f64 v[8:9], v[0:1], v[4:5], -v[8:9]
	v_mul_f64 v[0:1], v[0:1], v[6:7]
	v_fma_f64 v[10:11], v[2:3], v[4:5], v[0:1]
	global_load_b128 v[4:7], v[12:13], off offset:4080
	ds_load_b128 v[0:3], v36 offset:4080
	ds_store_b128 v36, v[8:11] offset:2720
	s_waitcnt vmcnt(0) lgkmcnt(1)
	v_mul_f64 v[8:9], v[2:3], v[6:7]
	s_delay_alu instid0(VALU_DEP_1) | instskip(SKIP_1) | instid1(VALU_DEP_1)
	v_fma_f64 v[8:9], v[0:1], v[4:5], -v[8:9]
	v_mul_f64 v[0:1], v[0:1], v[6:7]
	v_fma_f64 v[10:11], v[2:3], v[4:5], v[0:1]
	v_add_co_u32 v4, s0, 0x6000, v39
	s_delay_alu instid0(VALU_DEP_1)
	v_add_co_ci_u32_e64 v5, s0, 0, v37, s0
	ds_load_b128 v[0:3], v36 offset:5440
	v_add_co_u32 v12, s0, 0x7000, v39
	global_load_b128 v[4:7], v[4:5], off offset:3984
	v_add_co_ci_u32_e64 v13, s0, 0, v37, s0
	ds_store_b128 v36, v[8:11] offset:4080
	s_waitcnt vmcnt(0) lgkmcnt(1)
	v_mul_f64 v[8:9], v[2:3], v[6:7]
	s_delay_alu instid0(VALU_DEP_1) | instskip(SKIP_1) | instid1(VALU_DEP_1)
	v_fma_f64 v[8:9], v[0:1], v[4:5], -v[8:9]
	v_mul_f64 v[0:1], v[0:1], v[6:7]
	v_fma_f64 v[10:11], v[2:3], v[4:5], v[0:1]
	global_load_b128 v[4:7], v[12:13], off offset:1248
	ds_load_b128 v[0:3], v36 offset:6800
	ds_store_b128 v36, v[8:11] offset:5440
	s_waitcnt vmcnt(0) lgkmcnt(1)
	v_mul_f64 v[8:9], v[2:3], v[6:7]
	s_delay_alu instid0(VALU_DEP_1) | instskip(SKIP_1) | instid1(VALU_DEP_1)
	v_fma_f64 v[8:9], v[0:1], v[4:5], -v[8:9]
	v_mul_f64 v[0:1], v[0:1], v[6:7]
	v_fma_f64 v[10:11], v[2:3], v[4:5], v[0:1]
	global_load_b128 v[4:7], v[12:13], off offset:2608
	ds_load_b128 v[0:3], v36 offset:8160
	;; [unrolled: 9-line block ×3, first 2 shown]
	v_add_co_u32 v12, s0, 0x8000, v39
	s_delay_alu instid0(VALU_DEP_1) | instskip(SKIP_3) | instid1(VALU_DEP_1)
	v_add_co_ci_u32_e64 v13, s0, 0, v37, s0
	ds_store_b128 v36, v[8:11] offset:8160
	s_waitcnt vmcnt(0) lgkmcnt(1)
	v_mul_f64 v[8:9], v[2:3], v[6:7]
	v_fma_f64 v[8:9], v[0:1], v[4:5], -v[8:9]
	v_mul_f64 v[0:1], v[0:1], v[6:7]
	s_delay_alu instid0(VALU_DEP_1)
	v_fma_f64 v[10:11], v[2:3], v[4:5], v[0:1]
	global_load_b128 v[4:7], v[12:13], off offset:1232
	ds_load_b128 v[0:3], v36 offset:10880
	ds_store_b128 v36, v[8:11] offset:9520
	s_waitcnt vmcnt(0) lgkmcnt(1)
	v_mul_f64 v[8:9], v[2:3], v[6:7]
	s_delay_alu instid0(VALU_DEP_1) | instskip(SKIP_1) | instid1(VALU_DEP_1)
	v_fma_f64 v[8:9], v[0:1], v[4:5], -v[8:9]
	v_mul_f64 v[0:1], v[0:1], v[6:7]
	v_fma_f64 v[10:11], v[2:3], v[4:5], v[0:1]
	global_load_b128 v[4:7], v[12:13], off offset:2592
	ds_load_b128 v[0:3], v36 offset:12240
	ds_store_b128 v36, v[8:11] offset:10880
	s_waitcnt vmcnt(0) lgkmcnt(1)
	v_mul_f64 v[8:9], v[2:3], v[6:7]
	s_delay_alu instid0(VALU_DEP_1) | instskip(SKIP_1) | instid1(VALU_DEP_1)
	v_fma_f64 v[8:9], v[0:1], v[4:5], -v[8:9]
	v_mul_f64 v[0:1], v[0:1], v[6:7]
	v_fma_f64 v[10:11], v[2:3], v[4:5], v[0:1]
	global_load_b128 v[4:7], v[12:13], off offset:3952
	ds_load_b128 v[0:3], v36 offset:13600
	v_add_co_u32 v12, s0, 0x9000, v39
	s_delay_alu instid0(VALU_DEP_1) | instskip(SKIP_3) | instid1(VALU_DEP_1)
	v_add_co_ci_u32_e64 v13, s0, 0, v37, s0
	ds_store_b128 v36, v[8:11] offset:12240
	s_waitcnt vmcnt(0) lgkmcnt(1)
	v_mul_f64 v[8:9], v[2:3], v[6:7]
	v_fma_f64 v[8:9], v[0:1], v[4:5], -v[8:9]
	v_mul_f64 v[0:1], v[0:1], v[6:7]
	s_delay_alu instid0(VALU_DEP_1)
	v_fma_f64 v[10:11], v[2:3], v[4:5], v[0:1]
	global_load_b128 v[4:7], v[12:13], off offset:1216
	ds_load_b128 v[0:3], v36 offset:14960
	ds_store_b128 v36, v[8:11] offset:13600
	s_waitcnt vmcnt(0) lgkmcnt(1)
	v_mul_f64 v[8:9], v[2:3], v[6:7]
	s_delay_alu instid0(VALU_DEP_1) | instskip(SKIP_1) | instid1(VALU_DEP_1)
	v_fma_f64 v[8:9], v[0:1], v[4:5], -v[8:9]
	v_mul_f64 v[0:1], v[0:1], v[6:7]
	v_fma_f64 v[10:11], v[2:3], v[4:5], v[0:1]
	global_load_b128 v[4:7], v[12:13], off offset:2576
	ds_load_b128 v[0:3], v36 offset:16320
	ds_store_b128 v36, v[8:11] offset:14960
	s_waitcnt vmcnt(0) lgkmcnt(1)
	v_mul_f64 v[8:9], v[2:3], v[6:7]
	s_delay_alu instid0(VALU_DEP_1) | instskip(SKIP_1) | instid1(VALU_DEP_1)
	v_fma_f64 v[8:9], v[0:1], v[4:5], -v[8:9]
	v_mul_f64 v[0:1], v[0:1], v[6:7]
	v_fma_f64 v[10:11], v[2:3], v[4:5], v[0:1]
	global_load_b128 v[4:7], v[12:13], off offset:3936
	ds_load_b128 v[0:3], v36 offset:17680
	;; [unrolled: 30-line block ×3, first 2 shown]
	ds_store_b128 v36, v[8:11] offset:20400
	s_waitcnt vmcnt(0) lgkmcnt(1)
	v_mul_f64 v[8:9], v[2:3], v[6:7]
	s_delay_alu instid0(VALU_DEP_1) | instskip(SKIP_1) | instid1(VALU_DEP_1)
	v_fma_f64 v[8:9], v[0:1], v[4:5], -v[8:9]
	v_mul_f64 v[0:1], v[0:1], v[6:7]
	v_fma_f64 v[10:11], v[2:3], v[4:5], v[0:1]
	ds_store_b128 v36, v[8:11] offset:21760
	s_waitcnt lgkmcnt(0)
	s_barrier
	buffer_gl0_inv
	ds_load_b128 v[0:3], v36
	ds_load_b128 v[4:7], v36 offset:1360
	ds_load_b128 v[8:11], v36 offset:2720
	;; [unrolled: 1-line block ×16, first 2 shown]
	s_waitcnt lgkmcnt(0)
	s_barrier
	buffer_gl0_inv
	v_add_f64 v[43:44], v[2:3], v[6:7]
	v_add_f64 v[39:40], v[0:1], v[4:5]
	s_delay_alu instid0(VALU_DEP_2) | instskip(NEXT) | instid1(VALU_DEP_2)
	v_add_f64 v[43:44], v[43:44], v[10:11]
	v_add_f64 v[39:40], v[39:40], v[8:9]
	s_delay_alu instid0(VALU_DEP_2) | instskip(NEXT) | instid1(VALU_DEP_2)
	v_add_f64 v[43:44], v[43:44], v[14:15]
	v_add_f64 v[39:40], v[39:40], v[12:13]
	s_delay_alu instid0(VALU_DEP_2) | instskip(NEXT) | instid1(VALU_DEP_2)
	v_add_f64 v[43:44], v[43:44], v[18:19]
	v_add_f64 v[39:40], v[39:40], v[16:17]
	s_delay_alu instid0(VALU_DEP_2) | instskip(NEXT) | instid1(VALU_DEP_2)
	v_add_f64 v[43:44], v[43:44], v[238:239]
	v_add_f64 v[39:40], v[39:40], v[236:237]
	s_delay_alu instid0(VALU_DEP_2) | instskip(NEXT) | instid1(VALU_DEP_2)
	v_add_f64 v[43:44], v[43:44], v[230:231]
	v_add_f64 v[39:40], v[39:40], v[228:229]
	s_delay_alu instid0(VALU_DEP_2) | instskip(NEXT) | instid1(VALU_DEP_2)
	v_add_f64 v[43:44], v[43:44], v[222:223]
	v_add_f64 v[39:40], v[39:40], v[220:221]
	s_delay_alu instid0(VALU_DEP_2) | instskip(NEXT) | instid1(VALU_DEP_2)
	v_add_f64 v[43:44], v[43:44], v[214:215]
	v_add_f64 v[39:40], v[39:40], v[212:213]
	s_delay_alu instid0(VALU_DEP_2) | instskip(NEXT) | instid1(VALU_DEP_2)
	v_add_f64 v[43:44], v[43:44], v[218:219]
	v_add_f64 v[39:40], v[39:40], v[216:217]
	s_delay_alu instid0(VALU_DEP_2) | instskip(NEXT) | instid1(VALU_DEP_2)
	v_add_f64 v[43:44], v[43:44], v[226:227]
	v_add_f64 v[39:40], v[39:40], v[224:225]
	s_delay_alu instid0(VALU_DEP_2) | instskip(NEXT) | instid1(VALU_DEP_2)
	v_add_f64 v[43:44], v[43:44], v[234:235]
	v_add_f64 v[39:40], v[39:40], v[232:233]
	s_delay_alu instid0(VALU_DEP_2) | instskip(NEXT) | instid1(VALU_DEP_2)
	v_add_f64 v[43:44], v[43:44], v[242:243]
	v_add_f64 v[39:40], v[39:40], v[240:241]
	s_delay_alu instid0(VALU_DEP_2) | instskip(NEXT) | instid1(VALU_DEP_2)
	v_add_f64 v[43:44], v[43:44], v[22:23]
	v_add_f64 v[39:40], v[39:40], v[20:21]
	s_delay_alu instid0(VALU_DEP_2) | instskip(NEXT) | instid1(VALU_DEP_2)
	v_add_f64 v[43:44], v[43:44], v[26:27]
	v_add_f64 v[39:40], v[39:40], v[24:25]
	s_delay_alu instid0(VALU_DEP_2) | instskip(NEXT) | instid1(VALU_DEP_2)
	v_add_f64 v[43:44], v[43:44], v[30:31]
	v_add_f64 v[39:40], v[39:40], v[28:29]
	s_delay_alu instid0(VALU_DEP_2) | instskip(SKIP_2) | instid1(VALU_DEP_4)
	v_add_f64 v[210:211], v[43:44], v[34:35]
	v_add_f64 v[43:44], v[6:7], v[34:35]
	v_add_f64 v[6:7], v[6:7], -v[34:35]
	v_add_f64 v[208:209], v[39:40], v[32:33]
	v_add_f64 v[39:40], v[4:5], v[32:33]
	v_add_f64 v[4:5], v[4:5], -v[32:33]
	v_mul_f64 v[45:46], v[43:44], s[28:29]
	v_mul_f64 v[32:33], v[6:7], s[30:31]
	;; [unrolled: 1-line block ×16, first 2 shown]
	v_fma_f64 v[47:48], v[4:5], s[48:49], v[45:46]
	v_fma_f64 v[34:35], v[39:40], s[28:29], v[32:33]
	v_fma_f64 v[32:33], v[39:40], s[28:29], -v[32:33]
	v_fma_f64 v[51:52], v[39:40], s[20:21], v[49:50]
	v_fma_f64 v[49:50], v[39:40], s[20:21], -v[49:50]
	v_fma_f64 v[59:60], v[39:40], s[16:17], v[57:58]
	v_fma_f64 v[57:58], v[39:40], s[16:17], -v[57:58]
	v_fma_f64 v[67:68], v[39:40], s[8:9], v[65:66]
	v_fma_f64 v[65:66], v[39:40], s[8:9], -v[65:66]
	v_fma_f64 v[76:77], v[39:40], s[14:15], v[74:75]
	v_fma_f64 v[74:75], v[39:40], s[14:15], -v[74:75]
	v_fma_f64 v[196:197], v[39:40], s[26:27], v[82:83]
	v_fma_f64 v[82:83], v[39:40], s[26:27], -v[82:83]
	v_fma_f64 v[204:205], v[39:40], s[40:41], v[202:203]
	v_fma_f64 v[202:203], v[39:40], s[40:41], -v[202:203]
	v_fma_f64 v[246:247], v[39:40], s[46:47], v[6:7]
	v_fma_f64 v[6:7], v[39:40], s[46:47], -v[6:7]
	v_fma_f64 v[45:46], v[4:5], s[30:31], v[45:46]
	v_fma_f64 v[55:56], v[4:5], s[50:51], v[53:54]
	;; [unrolled: 1-line block ×15, first 2 shown]
	v_add_f64 v[47:48], v[2:3], v[47:48]
	v_add_f64 v[34:35], v[0:1], v[34:35]
	;; [unrolled: 1-line block ×18, first 2 shown]
	v_add_f64 v[10:11], v[10:11], -v[30:31]
	v_add_f64 v[45:46], v[2:3], v[45:46]
	v_add_f64 v[55:56], v[2:3], v[55:56]
	;; [unrolled: 1-line block ×16, first 2 shown]
	v_add_f64 v[8:9], v[8:9], -v[28:29]
	v_mul_f64 v[28:29], v[10:11], s[22:23]
	s_delay_alu instid0(VALU_DEP_1) | instskip(SKIP_1) | instid1(VALU_DEP_2)
	v_fma_f64 v[30:31], v[4:5], s[20:21], v[28:29]
	v_fma_f64 v[28:29], v[4:5], s[20:21], -v[28:29]
	v_add_f64 v[30:31], v[30:31], v[34:35]
	v_mul_f64 v[34:35], v[6:7], s[20:21]
	s_delay_alu instid0(VALU_DEP_3) | instskip(NEXT) | instid1(VALU_DEP_2)
	v_add_f64 v[28:29], v[28:29], v[32:33]
	v_fma_f64 v[39:40], v[8:9], s[50:51], v[34:35]
	v_fma_f64 v[32:33], v[8:9], s[22:23], v[34:35]
	v_mul_f64 v[34:35], v[10:11], s[10:11]
	s_delay_alu instid0(VALU_DEP_3) | instskip(NEXT) | instid1(VALU_DEP_3)
	v_add_f64 v[39:40], v[39:40], v[47:48]
	v_add_f64 v[32:33], v[32:33], v[45:46]
	s_delay_alu instid0(VALU_DEP_3) | instskip(SKIP_2) | instid1(VALU_DEP_3)
	v_fma_f64 v[43:44], v[4:5], s[8:9], v[34:35]
	v_fma_f64 v[34:35], v[4:5], s[8:9], -v[34:35]
	v_mul_f64 v[45:46], v[6:7], s[8:9]
	v_add_f64 v[43:44], v[43:44], v[51:52]
	s_delay_alu instid0(VALU_DEP_3) | instskip(SKIP_1) | instid1(VALU_DEP_4)
	v_add_f64 v[34:35], v[34:35], v[49:50]
	v_mul_f64 v[49:50], v[10:11], s[24:25]
	v_fma_f64 v[47:48], v[8:9], s[52:53], v[45:46]
	v_fma_f64 v[45:46], v[8:9], s[10:11], v[45:46]
	s_delay_alu instid0(VALU_DEP_3) | instskip(SKIP_1) | instid1(VALU_DEP_3)
	v_fma_f64 v[51:52], v[4:5], s[26:27], v[49:50]
	v_fma_f64 v[49:50], v[4:5], s[26:27], -v[49:50]
	v_add_f64 v[45:46], v[45:46], v[53:54]
	v_mul_f64 v[53:54], v[6:7], s[26:27]
	v_add_f64 v[47:48], v[47:48], v[55:56]
	v_add_f64 v[51:52], v[51:52], v[59:60]
	v_add_f64 v[49:50], v[49:50], v[57:58]
	v_mul_f64 v[57:58], v[10:11], s[42:43]
	v_fma_f64 v[55:56], v[8:9], s[56:57], v[53:54]
	v_fma_f64 v[53:54], v[8:9], s[24:25], v[53:54]
	s_delay_alu instid0(VALU_DEP_3) | instskip(SKIP_1) | instid1(VALU_DEP_3)
	v_fma_f64 v[59:60], v[4:5], s[46:47], v[57:58]
	v_fma_f64 v[57:58], v[4:5], s[46:47], -v[57:58]
	v_add_f64 v[53:54], v[53:54], v[61:62]
	v_mul_f64 v[61:62], v[6:7], s[46:47]
	v_add_f64 v[55:56], v[55:56], v[63:64]
	v_add_f64 v[59:60], v[59:60], v[67:68]
	;; [unrolled: 11-line block ×4, first 2 shown]
	v_add_f64 v[74:75], v[74:75], v[82:83]
	v_mul_f64 v[82:83], v[10:11], s[36:37]
	v_fma_f64 v[80:81], v[8:9], s[12:13], v[78:79]
	v_fma_f64 v[78:79], v[8:9], s[34:35], v[78:79]
	v_mul_f64 v[10:11], v[10:11], s[48:49]
	s_delay_alu instid0(VALU_DEP_4) | instskip(SKIP_1) | instid1(VALU_DEP_4)
	v_fma_f64 v[196:197], v[4:5], s[16:17], v[82:83]
	v_fma_f64 v[82:83], v[4:5], s[16:17], -v[82:83]
	v_add_f64 v[78:79], v[78:79], v[198:199]
	v_mul_f64 v[198:199], v[6:7], s[16:17]
	v_mul_f64 v[6:7], v[6:7], s[28:29]
	v_add_f64 v[80:81], v[80:81], v[200:201]
	v_add_f64 v[196:197], v[196:197], v[204:205]
	;; [unrolled: 1-line block ×3, first 2 shown]
	v_fma_f64 v[202:203], v[4:5], s[28:29], v[10:11]
	v_fma_f64 v[4:5], v[4:5], s[28:29], -v[10:11]
	v_add_f64 v[10:11], v[14:15], -v[26:27]
	v_fma_f64 v[200:201], v[8:9], s[18:19], v[198:199]
	v_fma_f64 v[198:199], v[8:9], s[36:37], v[198:199]
	;; [unrolled: 1-line block ×3, first 2 shown]
	v_add_f64 v[202:203], v[202:203], v[246:247]
	v_add_f64 v[0:1], v[4:5], v[0:1]
	v_fma_f64 v[4:5], v[8:9], s[48:49], v[6:7]
	v_add_f64 v[8:9], v[12:13], -v[24:25]
	v_add_f64 v[6:7], v[14:15], v[26:27]
	v_add_f64 v[198:199], v[198:199], v[206:207]
	;; [unrolled: 1-line block ×6, first 2 shown]
	v_mul_f64 v[12:13], v[10:11], s[18:19]
	v_mul_f64 v[24:25], v[6:7], s[16:17]
	s_delay_alu instid0(VALU_DEP_2) | instskip(SKIP_1) | instid1(VALU_DEP_3)
	v_fma_f64 v[14:15], v[4:5], s[16:17], v[12:13]
	v_fma_f64 v[12:13], v[4:5], s[16:17], -v[12:13]
	v_fma_f64 v[26:27], v[8:9], s[36:37], v[24:25]
	v_fma_f64 v[24:25], v[8:9], s[18:19], v[24:25]
	s_delay_alu instid0(VALU_DEP_4) | instskip(NEXT) | instid1(VALU_DEP_4)
	v_add_f64 v[14:15], v[14:15], v[30:31]
	v_add_f64 v[12:13], v[12:13], v[28:29]
	v_mul_f64 v[28:29], v[10:11], s[24:25]
	s_delay_alu instid0(VALU_DEP_4) | instskip(SKIP_2) | instid1(VALU_DEP_4)
	v_add_f64 v[24:25], v[24:25], v[32:33]
	v_mul_f64 v[32:33], v[6:7], s[26:27]
	v_add_f64 v[26:27], v[26:27], v[39:40]
	v_fma_f64 v[30:31], v[4:5], s[26:27], v[28:29]
	v_fma_f64 v[28:29], v[4:5], s[26:27], -v[28:29]
	s_delay_alu instid0(VALU_DEP_4) | instskip(SKIP_1) | instid1(VALU_DEP_4)
	v_fma_f64 v[39:40], v[8:9], s[56:57], v[32:33]
	v_fma_f64 v[32:33], v[8:9], s[24:25], v[32:33]
	v_add_f64 v[30:31], v[30:31], v[43:44]
	s_delay_alu instid0(VALU_DEP_4) | instskip(SKIP_1) | instid1(VALU_DEP_4)
	v_add_f64 v[28:29], v[28:29], v[34:35]
	v_mul_f64 v[34:35], v[10:11], s[54:55]
	v_add_f64 v[32:33], v[32:33], v[45:46]
	v_mul_f64 v[45:46], v[6:7], s[46:47]
	v_add_f64 v[39:40], v[39:40], v[47:48]
	s_delay_alu instid0(VALU_DEP_4) | instskip(SKIP_1) | instid1(VALU_DEP_4)
	v_fma_f64 v[43:44], v[4:5], s[46:47], v[34:35]
	v_fma_f64 v[34:35], v[4:5], s[46:47], -v[34:35]
	v_fma_f64 v[47:48], v[8:9], s[42:43], v[45:46]
	v_fma_f64 v[45:46], v[8:9], s[54:55], v[45:46]
	s_delay_alu instid0(VALU_DEP_4) | instskip(NEXT) | instid1(VALU_DEP_4)
	v_add_f64 v[43:44], v[43:44], v[51:52]
	v_add_f64 v[34:35], v[34:35], v[49:50]
	v_mul_f64 v[49:50], v[10:11], s[34:35]
	s_delay_alu instid0(VALU_DEP_4) | instskip(SKIP_2) | instid1(VALU_DEP_4)
	v_add_f64 v[45:46], v[45:46], v[53:54]
	v_mul_f64 v[53:54], v[6:7], s[14:15]
	v_add_f64 v[47:48], v[47:48], v[55:56]
	v_fma_f64 v[51:52], v[4:5], s[14:15], v[49:50]
	v_fma_f64 v[49:50], v[4:5], s[14:15], -v[49:50]
	s_delay_alu instid0(VALU_DEP_4) | instskip(SKIP_1) | instid1(VALU_DEP_4)
	v_fma_f64 v[55:56], v[8:9], s[12:13], v[53:54]
	v_fma_f64 v[53:54], v[8:9], s[34:35], v[53:54]
	v_add_f64 v[51:52], v[51:52], v[59:60]
	s_delay_alu instid0(VALU_DEP_4) | instskip(SKIP_1) | instid1(VALU_DEP_4)
	v_add_f64 v[49:50], v[49:50], v[57:58]
	v_mul_f64 v[57:58], v[10:11], s[50:51]
	v_add_f64 v[53:54], v[53:54], v[61:62]
	v_mul_f64 v[61:62], v[6:7], s[20:21]
	v_add_f64 v[55:56], v[55:56], v[63:64]
	s_delay_alu instid0(VALU_DEP_4) | instskip(SKIP_1) | instid1(VALU_DEP_4)
	v_fma_f64 v[59:60], v[4:5], s[20:21], v[57:58]
	v_fma_f64 v[57:58], v[4:5], s[20:21], -v[57:58]
	v_fma_f64 v[63:64], v[8:9], s[22:23], v[61:62]
	v_fma_f64 v[61:62], v[8:9], s[50:51], v[61:62]
	s_delay_alu instid0(VALU_DEP_4) | instskip(NEXT) | instid1(VALU_DEP_4)
	v_add_f64 v[59:60], v[59:60], v[67:68]
	v_add_f64 v[57:58], v[57:58], v[65:66]
	v_mul_f64 v[65:66], v[10:11], s[30:31]
	s_delay_alu instid0(VALU_DEP_4) | instskip(SKIP_2) | instid1(VALU_DEP_4)
	v_add_f64 v[61:62], v[61:62], v[70:71]
	v_mul_f64 v[70:71], v[6:7], s[28:29]
	v_add_f64 v[63:64], v[63:64], v[72:73]
	v_fma_f64 v[67:68], v[4:5], s[28:29], v[65:66]
	v_fma_f64 v[65:66], v[4:5], s[28:29], -v[65:66]
	s_delay_alu instid0(VALU_DEP_4) | instskip(SKIP_1) | instid1(VALU_DEP_4)
	v_fma_f64 v[72:73], v[8:9], s[48:49], v[70:71]
	v_fma_f64 v[70:71], v[8:9], s[30:31], v[70:71]
	v_add_f64 v[67:68], v[67:68], v[76:77]
	s_delay_alu instid0(VALU_DEP_4)
	v_add_f64 v[65:66], v[65:66], v[74:75]
	v_mul_f64 v[74:75], v[10:11], s[10:11]
	v_mul_f64 v[10:11], v[10:11], s[38:39]
	v_add_f64 v[70:71], v[70:71], v[78:79]
	v_mul_f64 v[78:79], v[6:7], s[8:9]
	v_mul_f64 v[6:7], v[6:7], s[40:41]
	v_add_f64 v[72:73], v[72:73], v[80:81]
	v_fma_f64 v[76:77], v[4:5], s[8:9], v[74:75]
	v_fma_f64 v[74:75], v[4:5], s[8:9], -v[74:75]
	v_fma_f64 v[80:81], v[8:9], s[52:53], v[78:79]
	v_fma_f64 v[78:79], v[8:9], s[10:11], v[78:79]
	s_delay_alu instid0(VALU_DEP_4) | instskip(NEXT) | instid1(VALU_DEP_4)
	v_add_f64 v[76:77], v[76:77], v[196:197]
	v_add_f64 v[74:75], v[74:75], v[82:83]
	v_fma_f64 v[82:83], v[4:5], s[40:41], v[10:11]
	v_fma_f64 v[4:5], v[4:5], s[40:41], -v[10:11]
	v_add_f64 v[10:11], v[18:19], -v[22:23]
	v_fma_f64 v[196:197], v[8:9], s[44:45], v[6:7]
	v_add_f64 v[78:79], v[78:79], v[198:199]
	v_add_f64 v[80:81], v[80:81], v[200:201]
	;; [unrolled: 1-line block ×4, first 2 shown]
	v_fma_f64 v[4:5], v[8:9], s[38:39], v[6:7]
	v_add_f64 v[8:9], v[16:17], -v[20:21]
	v_add_f64 v[6:7], v[18:19], v[22:23]
	v_add_f64 v[196:197], v[196:197], v[204:205]
	s_delay_alu instid0(VALU_DEP_4) | instskip(SKIP_2) | instid1(VALU_DEP_1)
	v_add_f64 v[2:3], v[4:5], v[2:3]
	v_add_f64 v[4:5], v[16:17], v[20:21]
	v_mul_f64 v[16:17], v[10:11], s[10:11]
	v_fma_f64 v[18:19], v[4:5], s[8:9], v[16:17]
	v_fma_f64 v[16:17], v[4:5], s[8:9], -v[16:17]
	s_delay_alu instid0(VALU_DEP_2) | instskip(SKIP_1) | instid1(VALU_DEP_3)
	v_add_f64 v[14:15], v[18:19], v[14:15]
	v_mul_f64 v[18:19], v[6:7], s[8:9]
	v_add_f64 v[12:13], v[16:17], v[12:13]
	s_delay_alu instid0(VALU_DEP_2) | instskip(SKIP_2) | instid1(VALU_DEP_3)
	v_fma_f64 v[20:21], v[8:9], s[52:53], v[18:19]
	v_fma_f64 v[16:17], v[8:9], s[10:11], v[18:19]
	v_mul_f64 v[18:19], v[10:11], s[42:43]
	v_add_f64 v[20:21], v[20:21], v[26:27]
	s_delay_alu instid0(VALU_DEP_3) | instskip(NEXT) | instid1(VALU_DEP_3)
	v_add_f64 v[16:17], v[16:17], v[24:25]
	v_fma_f64 v[22:23], v[4:5], s[46:47], v[18:19]
	v_fma_f64 v[18:19], v[4:5], s[46:47], -v[18:19]
	v_mul_f64 v[24:25], v[6:7], s[46:47]
	s_delay_alu instid0(VALU_DEP_3) | instskip(NEXT) | instid1(VALU_DEP_3)
	v_add_f64 v[22:23], v[22:23], v[30:31]
	v_add_f64 v[18:19], v[18:19], v[28:29]
	v_mul_f64 v[28:29], v[10:11], s[34:35]
	s_delay_alu instid0(VALU_DEP_4) | instskip(SKIP_1) | instid1(VALU_DEP_3)
	v_fma_f64 v[26:27], v[8:9], s[54:55], v[24:25]
	v_fma_f64 v[24:25], v[8:9], s[42:43], v[24:25]
	;; [unrolled: 1-line block ×3, first 2 shown]
	v_fma_f64 v[28:29], v[4:5], s[14:15], -v[28:29]
	s_delay_alu instid0(VALU_DEP_3)
	v_add_f64 v[24:25], v[24:25], v[32:33]
	v_mul_f64 v[32:33], v[6:7], s[14:15]
	v_add_f64 v[26:27], v[26:27], v[39:40]
	v_add_f64 v[30:31], v[30:31], v[43:44]
	v_add_f64 v[28:29], v[28:29], v[34:35]
	v_mul_f64 v[34:35], v[10:11], s[48:49]
	v_fma_f64 v[39:40], v[8:9], s[12:13], v[32:33]
	v_fma_f64 v[32:33], v[8:9], s[34:35], v[32:33]
	s_delay_alu instid0(VALU_DEP_3) | instskip(SKIP_1) | instid1(VALU_DEP_3)
	v_fma_f64 v[43:44], v[4:5], s[28:29], v[34:35]
	v_fma_f64 v[34:35], v[4:5], s[28:29], -v[34:35]
	v_add_f64 v[32:33], v[32:33], v[45:46]
	v_mul_f64 v[45:46], v[6:7], s[28:29]
	v_add_f64 v[39:40], v[39:40], v[47:48]
	v_add_f64 v[43:44], v[43:44], v[51:52]
	v_add_f64 v[34:35], v[34:35], v[49:50]
	v_mul_f64 v[49:50], v[10:11], s[18:19]
	v_fma_f64 v[47:48], v[8:9], s[30:31], v[45:46]
	v_fma_f64 v[45:46], v[8:9], s[48:49], v[45:46]
	s_delay_alu instid0(VALU_DEP_3) | instskip(SKIP_1) | instid1(VALU_DEP_3)
	v_fma_f64 v[51:52], v[4:5], s[16:17], v[49:50]
	v_fma_f64 v[49:50], v[4:5], s[16:17], -v[49:50]
	;; [unrolled: 11-line block ×3, first 2 shown]
	v_add_f64 v[53:54], v[53:54], v[61:62]
	v_mul_f64 v[61:62], v[6:7], s[40:41]
	v_add_f64 v[55:56], v[55:56], v[63:64]
	v_add_f64 v[59:60], v[59:60], v[67:68]
	;; [unrolled: 1-line block ×3, first 2 shown]
	v_mul_f64 v[65:66], v[10:11], s[56:57]
	v_fma_f64 v[63:64], v[8:9], s[44:45], v[61:62]
	v_fma_f64 v[61:62], v[8:9], s[38:39], v[61:62]
	v_mul_f64 v[10:11], v[10:11], s[50:51]
	s_delay_alu instid0(VALU_DEP_4) | instskip(SKIP_1) | instid1(VALU_DEP_4)
	v_fma_f64 v[67:68], v[4:5], s[26:27], v[65:66]
	v_fma_f64 v[65:66], v[4:5], s[26:27], -v[65:66]
	v_add_f64 v[61:62], v[61:62], v[70:71]
	v_mul_f64 v[70:71], v[6:7], s[26:27]
	v_mul_f64 v[6:7], v[6:7], s[20:21]
	v_add_f64 v[63:64], v[63:64], v[72:73]
	v_add_f64 v[67:68], v[67:68], v[76:77]
	;; [unrolled: 1-line block ×3, first 2 shown]
	v_fma_f64 v[74:75], v[4:5], s[20:21], v[10:11]
	v_fma_f64 v[4:5], v[4:5], s[20:21], -v[10:11]
	v_fma_f64 v[72:73], v[8:9], s[24:25], v[70:71]
	v_fma_f64 v[70:71], v[8:9], s[56:57], v[70:71]
	v_add_f64 v[10:11], v[238:239], -v[242:243]
	v_fma_f64 v[76:77], v[8:9], s[22:23], v[6:7]
	v_add_f64 v[74:75], v[74:75], v[82:83]
	v_add_f64 v[0:1], v[4:5], v[0:1]
	v_fma_f64 v[4:5], v[8:9], s[50:51], v[6:7]
	v_add_f64 v[70:71], v[70:71], v[78:79]
	v_mul_f64 v[78:79], v[10:11], s[12:13]
	v_add_f64 v[72:73], v[72:73], v[80:81]
	v_add_f64 v[6:7], v[238:239], v[242:243]
	v_add_f64 v[8:9], v[236:237], -v[240:241]
	v_add_f64 v[76:77], v[76:77], v[196:197]
	v_add_f64 v[196:197], v[222:223], -v[226:227]
	v_add_f64 v[2:3], v[4:5], v[2:3]
	v_add_f64 v[4:5], v[236:237], v[240:241]
	s_delay_alu instid0(VALU_DEP_1) | instskip(SKIP_1) | instid1(VALU_DEP_2)
	v_fma_f64 v[80:81], v[4:5], s[14:15], v[78:79]
	v_fma_f64 v[78:79], v[4:5], s[14:15], -v[78:79]
	v_add_f64 v[14:15], v[80:81], v[14:15]
	v_mul_f64 v[80:81], v[6:7], s[14:15]
	s_delay_alu instid0(VALU_DEP_3) | instskip(NEXT) | instid1(VALU_DEP_2)
	v_add_f64 v[12:13], v[78:79], v[12:13]
	v_fma_f64 v[78:79], v[8:9], s[12:13], v[80:81]
	v_fma_f64 v[82:83], v[8:9], s[34:35], v[80:81]
	s_delay_alu instid0(VALU_DEP_2) | instskip(SKIP_1) | instid1(VALU_DEP_3)
	v_add_f64 v[16:17], v[78:79], v[16:17]
	v_mul_f64 v[78:79], v[10:11], s[44:45]
	v_add_f64 v[20:21], v[82:83], v[20:21]
	s_delay_alu instid0(VALU_DEP_2) | instskip(SKIP_1) | instid1(VALU_DEP_2)
	v_fma_f64 v[80:81], v[4:5], s[40:41], v[78:79]
	v_fma_f64 v[78:79], v[4:5], s[40:41], -v[78:79]
	v_add_f64 v[22:23], v[80:81], v[22:23]
	v_mul_f64 v[80:81], v[6:7], s[40:41]
	s_delay_alu instid0(VALU_DEP_3) | instskip(NEXT) | instid1(VALU_DEP_2)
	v_add_f64 v[18:19], v[78:79], v[18:19]
	v_fma_f64 v[78:79], v[8:9], s[44:45], v[80:81]
	v_fma_f64 v[82:83], v[8:9], s[38:39], v[80:81]
	s_delay_alu instid0(VALU_DEP_2) | instskip(SKIP_1) | instid1(VALU_DEP_3)
	v_add_f64 v[24:25], v[78:79], v[24:25]
	v_mul_f64 v[78:79], v[10:11], s[50:51]
	v_add_f64 v[26:27], v[82:83], v[26:27]
	s_delay_alu instid0(VALU_DEP_2) | instskip(SKIP_1) | instid1(VALU_DEP_2)
	;; [unrolled: 13-line block ×5, first 2 shown]
	v_fma_f64 v[80:81], v[4:5], s[8:9], v[78:79]
	v_fma_f64 v[78:79], v[4:5], s[8:9], -v[78:79]
	v_add_f64 v[59:60], v[80:81], v[59:60]
	v_mul_f64 v[80:81], v[6:7], s[8:9]
	s_delay_alu instid0(VALU_DEP_3) | instskip(NEXT) | instid1(VALU_DEP_2)
	v_add_f64 v[57:58], v[78:79], v[57:58]
	v_fma_f64 v[78:79], v[8:9], s[52:53], v[80:81]
	v_fma_f64 v[82:83], v[8:9], s[10:11], v[80:81]
	s_delay_alu instid0(VALU_DEP_2) | instskip(SKIP_2) | instid1(VALU_DEP_4)
	v_add_f64 v[61:62], v[78:79], v[61:62]
	v_mul_f64 v[78:79], v[10:11], s[30:31]
	v_mul_f64 v[10:11], v[10:11], s[24:25]
	v_add_f64 v[63:64], v[82:83], v[63:64]
	s_delay_alu instid0(VALU_DEP_3) | instskip(SKIP_1) | instid1(VALU_DEP_2)
	v_fma_f64 v[80:81], v[4:5], s[28:29], v[78:79]
	v_fma_f64 v[78:79], v[4:5], s[28:29], -v[78:79]
	v_add_f64 v[67:68], v[80:81], v[67:68]
	v_mul_f64 v[80:81], v[6:7], s[28:29]
	s_delay_alu instid0(VALU_DEP_3) | instskip(SKIP_1) | instid1(VALU_DEP_3)
	v_add_f64 v[65:66], v[78:79], v[65:66]
	v_mul_f64 v[6:7], v[6:7], s[26:27]
	v_fma_f64 v[78:79], v[8:9], s[30:31], v[80:81]
	v_fma_f64 v[82:83], v[8:9], s[48:49], v[80:81]
	s_delay_alu instid0(VALU_DEP_2) | instskip(SKIP_4) | instid1(VALU_DEP_4)
	v_add_f64 v[70:71], v[78:79], v[70:71]
	v_fma_f64 v[78:79], v[4:5], s[26:27], v[10:11]
	v_fma_f64 v[4:5], v[4:5], s[26:27], -v[10:11]
	v_add_f64 v[10:11], v[230:231], -v[234:235]
	v_add_f64 v[72:73], v[82:83], v[72:73]
	v_add_f64 v[74:75], v[78:79], v[74:75]
	v_fma_f64 v[78:79], v[8:9], s[56:57], v[6:7]
	v_add_f64 v[0:1], v[4:5], v[0:1]
	v_fma_f64 v[4:5], v[8:9], s[24:25], v[6:7]
	v_add_f64 v[6:7], v[230:231], v[234:235]
	v_add_f64 v[8:9], v[228:229], -v[232:233]
	v_add_f64 v[76:77], v[78:79], v[76:77]
	v_mul_f64 v[78:79], v[10:11], s[24:25]
	v_add_f64 v[2:3], v[4:5], v[2:3]
	v_add_f64 v[4:5], v[228:229], v[232:233]
	s_delay_alu instid0(VALU_DEP_1) | instskip(SKIP_1) | instid1(VALU_DEP_2)
	v_fma_f64 v[80:81], v[4:5], s[26:27], v[78:79]
	v_fma_f64 v[78:79], v[4:5], s[26:27], -v[78:79]
	v_add_f64 v[14:15], v[80:81], v[14:15]
	v_mul_f64 v[80:81], v[6:7], s[26:27]
	s_delay_alu instid0(VALU_DEP_3) | instskip(NEXT) | instid1(VALU_DEP_2)
	v_add_f64 v[12:13], v[78:79], v[12:13]
	v_fma_f64 v[78:79], v[8:9], s[24:25], v[80:81]
	v_fma_f64 v[82:83], v[8:9], s[56:57], v[80:81]
	s_delay_alu instid0(VALU_DEP_2) | instskip(SKIP_1) | instid1(VALU_DEP_3)
	v_add_f64 v[16:17], v[78:79], v[16:17]
	v_mul_f64 v[78:79], v[10:11], s[34:35]
	v_add_f64 v[20:21], v[82:83], v[20:21]
	s_delay_alu instid0(VALU_DEP_2) | instskip(SKIP_1) | instid1(VALU_DEP_2)
	v_fma_f64 v[80:81], v[4:5], s[14:15], v[78:79]
	v_fma_f64 v[78:79], v[4:5], s[14:15], -v[78:79]
	v_add_f64 v[22:23], v[80:81], v[22:23]
	v_mul_f64 v[80:81], v[6:7], s[14:15]
	s_delay_alu instid0(VALU_DEP_3) | instskip(NEXT) | instid1(VALU_DEP_2)
	v_add_f64 v[18:19], v[78:79], v[18:19]
	v_fma_f64 v[78:79], v[8:9], s[34:35], v[80:81]
	v_fma_f64 v[82:83], v[8:9], s[12:13], v[80:81]
	s_delay_alu instid0(VALU_DEP_2) | instskip(SKIP_1) | instid1(VALU_DEP_3)
	v_add_f64 v[24:25], v[78:79], v[24:25]
	v_mul_f64 v[78:79], v[10:11], s[30:31]
	v_add_f64 v[26:27], v[82:83], v[26:27]
	s_delay_alu instid0(VALU_DEP_2) | instskip(SKIP_1) | instid1(VALU_DEP_2)
	;; [unrolled: 13-line block ×5, first 2 shown]
	v_fma_f64 v[80:81], v[4:5], s[20:21], v[78:79]
	v_fma_f64 v[78:79], v[4:5], s[20:21], -v[78:79]
	v_add_f64 v[59:60], v[80:81], v[59:60]
	v_mul_f64 v[80:81], v[6:7], s[20:21]
	s_delay_alu instid0(VALU_DEP_3) | instskip(NEXT) | instid1(VALU_DEP_2)
	v_add_f64 v[57:58], v[78:79], v[57:58]
	v_fma_f64 v[78:79], v[8:9], s[22:23], v[80:81]
	v_fma_f64 v[82:83], v[8:9], s[50:51], v[80:81]
	s_delay_alu instid0(VALU_DEP_2) | instskip(SKIP_2) | instid1(VALU_DEP_4)
	v_add_f64 v[61:62], v[78:79], v[61:62]
	v_mul_f64 v[78:79], v[10:11], s[42:43]
	v_mul_f64 v[10:11], v[10:11], s[36:37]
	v_add_f64 v[63:64], v[82:83], v[63:64]
	s_delay_alu instid0(VALU_DEP_3) | instskip(SKIP_1) | instid1(VALU_DEP_2)
	v_fma_f64 v[80:81], v[4:5], s[46:47], v[78:79]
	v_fma_f64 v[78:79], v[4:5], s[46:47], -v[78:79]
	v_add_f64 v[67:68], v[80:81], v[67:68]
	v_mul_f64 v[80:81], v[6:7], s[46:47]
	s_delay_alu instid0(VALU_DEP_3) | instskip(SKIP_1) | instid1(VALU_DEP_3)
	v_add_f64 v[65:66], v[78:79], v[65:66]
	v_mul_f64 v[6:7], v[6:7], s[16:17]
	v_fma_f64 v[78:79], v[8:9], s[42:43], v[80:81]
	v_fma_f64 v[82:83], v[8:9], s[54:55], v[80:81]
	v_add_f64 v[80:81], v[222:223], v[226:227]
	s_delay_alu instid0(VALU_DEP_3) | instskip(SKIP_4) | instid1(VALU_DEP_4)
	v_add_f64 v[70:71], v[78:79], v[70:71]
	v_fma_f64 v[78:79], v[4:5], s[16:17], v[10:11]
	v_fma_f64 v[4:5], v[4:5], s[16:17], -v[10:11]
	v_add_f64 v[72:73], v[82:83], v[72:73]
	v_add_f64 v[82:83], v[220:221], -v[224:225]
	v_add_f64 v[74:75], v[78:79], v[74:75]
	v_fma_f64 v[78:79], v[8:9], s[18:19], v[6:7]
	v_add_f64 v[0:1], v[4:5], v[0:1]
	v_fma_f64 v[4:5], v[8:9], s[36:37], v[6:7]
	s_delay_alu instid0(VALU_DEP_3) | instskip(SKIP_1) | instid1(VALU_DEP_3)
	v_add_f64 v[76:77], v[78:79], v[76:77]
	v_add_f64 v[78:79], v[220:221], v[224:225]
	;; [unrolled: 1-line block ×3, first 2 shown]
	v_mul_f64 v[4:5], v[196:197], s[38:39]
	s_delay_alu instid0(VALU_DEP_1) | instskip(SKIP_1) | instid1(VALU_DEP_2)
	v_fma_f64 v[6:7], v[78:79], s[40:41], v[4:5]
	v_fma_f64 v[4:5], v[78:79], s[40:41], -v[4:5]
	v_add_f64 v[220:221], v[6:7], v[14:15]
	v_mul_f64 v[6:7], v[80:81], s[40:41]
	s_delay_alu instid0(VALU_DEP_3) | instskip(NEXT) | instid1(VALU_DEP_2)
	v_add_f64 v[4:5], v[4:5], v[12:13]
	v_fma_f64 v[8:9], v[82:83], s[44:45], v[6:7]
	v_fma_f64 v[6:7], v[82:83], s[38:39], v[6:7]
	s_delay_alu instid0(VALU_DEP_2) | instskip(SKIP_1) | instid1(VALU_DEP_3)
	v_add_f64 v[222:223], v[8:9], v[20:21]
	v_mul_f64 v[8:9], v[196:197], s[36:37]
	v_add_f64 v[6:7], v[6:7], v[16:17]
	v_mul_f64 v[20:21], v[196:197], s[50:51]
	s_delay_alu instid0(VALU_DEP_3) | instskip(SKIP_1) | instid1(VALU_DEP_2)
	v_fma_f64 v[10:11], v[78:79], s[16:17], v[8:9]
	v_fma_f64 v[8:9], v[78:79], s[16:17], -v[8:9]
	v_add_f64 v[224:225], v[10:11], v[22:23]
	v_mul_f64 v[10:11], v[80:81], s[16:17]
	s_delay_alu instid0(VALU_DEP_3) | instskip(SKIP_1) | instid1(VALU_DEP_3)
	v_add_f64 v[8:9], v[8:9], v[18:19]
	v_mul_f64 v[22:23], v[80:81], s[20:21]
	v_fma_f64 v[12:13], v[82:83], s[18:19], v[10:11]
	v_fma_f64 v[10:11], v[82:83], s[36:37], v[10:11]
	s_delay_alu instid0(VALU_DEP_2) | instskip(SKIP_1) | instid1(VALU_DEP_3)
	v_add_f64 v[226:227], v[12:13], v[26:27]
	v_mul_f64 v[12:13], v[196:197], s[10:11]
	v_add_f64 v[10:11], v[10:11], v[24:25]
	s_delay_alu instid0(VALU_DEP_2) | instskip(SKIP_1) | instid1(VALU_DEP_2)
	v_fma_f64 v[14:15], v[78:79], s[8:9], v[12:13]
	v_fma_f64 v[12:13], v[78:79], s[8:9], -v[12:13]
	v_add_f64 v[232:233], v[14:15], v[30:31]
	v_mul_f64 v[14:15], v[80:81], s[8:9]
	s_delay_alu instid0(VALU_DEP_3) | instskip(NEXT) | instid1(VALU_DEP_2)
	v_add_f64 v[228:229], v[12:13], v[28:29]
	v_fma_f64 v[12:13], v[82:83], s[10:11], v[14:15]
	v_fma_f64 v[16:17], v[82:83], s[52:53], v[14:15]
	s_delay_alu instid0(VALU_DEP_2) | instskip(SKIP_1) | instid1(VALU_DEP_3)
	v_add_f64 v[230:231], v[12:13], v[32:33]
	v_mul_f64 v[12:13], v[196:197], s[56:57]
	v_add_f64 v[234:235], v[16:17], v[39:40]
	s_delay_alu instid0(VALU_DEP_2) | instskip(SKIP_1) | instid1(VALU_DEP_2)
	v_fma_f64 v[14:15], v[78:79], s[26:27], v[12:13]
	v_fma_f64 v[12:13], v[78:79], s[26:27], -v[12:13]
	v_add_f64 v[240:241], v[14:15], v[43:44]
	v_mul_f64 v[14:15], v[80:81], s[26:27]
	s_delay_alu instid0(VALU_DEP_3) | instskip(NEXT) | instid1(VALU_DEP_2)
	v_add_f64 v[236:237], v[12:13], v[34:35]
	;; [unrolled: 13-line block ×4, first 2 shown]
	v_fma_f64 v[16:17], v[82:83], s[54:55], v[14:15]
	v_fma_f64 v[12:13], v[82:83], s[42:43], v[14:15]
	;; [unrolled: 1-line block ×3, first 2 shown]
	s_delay_alu instid0(VALU_DEP_3) | instskip(NEXT) | instid1(VALU_DEP_3)
	v_add_f64 v[254:255], v[16:17], v[63:64]
	v_add_f64 v[16:17], v[12:13], v[61:62]
	v_fma_f64 v[12:13], v[78:79], s[20:21], v[20:21]
	v_fma_f64 v[20:21], v[78:79], s[20:21], -v[20:21]
	v_add_f64 v[14:15], v[14:15], v[72:73]
	s_delay_alu instid0(VALU_DEP_3) | instskip(NEXT) | instid1(VALU_DEP_3)
	v_add_f64 v[12:13], v[12:13], v[67:68]
	v_add_f64 v[45:46], v[20:21], v[65:66]
	v_fma_f64 v[20:21], v[82:83], s[50:51], v[22:23]
	s_delay_alu instid0(VALU_DEP_1) | instskip(SKIP_1) | instid1(VALU_DEP_1)
	v_add_f64 v[43:44], v[20:21], v[70:71]
	v_mul_f64 v[20:21], v[196:197], s[12:13]
	v_fma_f64 v[22:23], v[78:79], s[14:15], v[20:21]
	v_fma_f64 v[20:21], v[78:79], s[14:15], -v[20:21]
	s_delay_alu instid0(VALU_DEP_2) | instskip(SKIP_1) | instid1(VALU_DEP_3)
	v_add_f64 v[39:40], v[22:23], v[74:75]
	v_mul_f64 v[22:23], v[80:81], s[14:15]
	v_add_f64 v[32:33], v[20:21], v[0:1]
	v_add_f64 v[20:21], v[212:213], v[216:217]
	s_delay_alu instid0(VALU_DEP_3) | instskip(SKIP_2) | instid1(VALU_DEP_3)
	v_fma_f64 v[0:1], v[82:83], s[12:13], v[22:23]
	v_fma_f64 v[24:25], v[82:83], s[34:35], v[22:23]
	v_add_f64 v[22:23], v[214:215], v[218:219]
	v_add_f64 v[30:31], v[0:1], v[2:3]
	v_add_f64 v[2:3], v[214:215], -v[218:219]
	s_delay_alu instid0(VALU_DEP_4) | instskip(SKIP_1) | instid1(VALU_DEP_3)
	v_add_f64 v[34:35], v[24:25], v[76:77]
	v_add_f64 v[0:1], v[212:213], -v[216:217]
	v_mul_f64 v[24:25], v[2:3], s[42:43]
	s_delay_alu instid0(VALU_DEP_1) | instskip(SKIP_1) | instid1(VALU_DEP_2)
	v_fma_f64 v[26:27], v[20:21], s[46:47], v[24:25]
	v_fma_f64 v[24:25], v[20:21], s[46:47], -v[24:25]
	v_add_f64 v[220:221], v[26:27], v[220:221]
	v_mul_f64 v[26:27], v[22:23], s[46:47]
	s_delay_alu instid0(VALU_DEP_3) | instskip(NEXT) | instid1(VALU_DEP_2)
	v_add_f64 v[212:213], v[24:25], v[4:5]
	v_fma_f64 v[4:5], v[0:1], s[42:43], v[26:27]
	v_fma_f64 v[28:29], v[0:1], s[54:55], v[26:27]
	s_delay_alu instid0(VALU_DEP_2) | instskip(SKIP_1) | instid1(VALU_DEP_3)
	v_add_f64 v[214:215], v[4:5], v[6:7]
	v_mul_f64 v[4:5], v[2:3], s[48:49]
	v_add_f64 v[222:223], v[28:29], v[222:223]
	s_delay_alu instid0(VALU_DEP_2) | instskip(SKIP_1) | instid1(VALU_DEP_2)
	v_fma_f64 v[6:7], v[20:21], s[28:29], v[4:5]
	v_fma_f64 v[4:5], v[20:21], s[28:29], -v[4:5]
	v_add_f64 v[224:225], v[6:7], v[224:225]
	v_mul_f64 v[6:7], v[22:23], s[28:29]
	s_delay_alu instid0(VALU_DEP_3) | instskip(NEXT) | instid1(VALU_DEP_2)
	v_add_f64 v[216:217], v[4:5], v[8:9]
	v_fma_f64 v[4:5], v[0:1], s[48:49], v[6:7]
	v_fma_f64 v[24:25], v[0:1], s[30:31], v[6:7]
	s_delay_alu instid0(VALU_DEP_2) | instskip(SKIP_2) | instid1(VALU_DEP_4)
	v_add_f64 v[218:219], v[4:5], v[10:11]
	v_mul_f64 v[4:5], v[2:3], s[38:39]
	v_mul_f64 v[10:11], v[22:23], s[16:17]
	v_add_f64 v[226:227], v[24:25], v[226:227]
	s_delay_alu instid0(VALU_DEP_3) | instskip(SKIP_1) | instid1(VALU_DEP_2)
	v_fma_f64 v[6:7], v[20:21], s[40:41], v[4:5]
	v_fma_f64 v[4:5], v[20:21], s[40:41], -v[4:5]
	v_add_f64 v[232:233], v[6:7], v[232:233]
	v_mul_f64 v[6:7], v[22:23], s[40:41]
	s_delay_alu instid0(VALU_DEP_3) | instskip(NEXT) | instid1(VALU_DEP_2)
	v_add_f64 v[228:229], v[4:5], v[228:229]
	v_fma_f64 v[4:5], v[0:1], s[38:39], v[6:7]
	v_fma_f64 v[8:9], v[0:1], s[44:45], v[6:7]
	s_delay_alu instid0(VALU_DEP_2) | instskip(SKIP_1) | instid1(VALU_DEP_3)
	v_add_f64 v[230:231], v[4:5], v[230:231]
	v_mul_f64 v[4:5], v[2:3], s[50:51]
	v_add_f64 v[234:235], v[8:9], v[234:235]
	s_delay_alu instid0(VALU_DEP_2) | instskip(SKIP_1) | instid1(VALU_DEP_2)
	v_fma_f64 v[6:7], v[20:21], s[20:21], v[4:5]
	v_fma_f64 v[4:5], v[20:21], s[20:21], -v[4:5]
	v_add_f64 v[240:241], v[6:7], v[240:241]
	v_mul_f64 v[6:7], v[22:23], s[20:21]
	s_delay_alu instid0(VALU_DEP_3) | instskip(NEXT) | instid1(VALU_DEP_2)
	v_add_f64 v[236:237], v[4:5], v[236:237]
	v_fma_f64 v[4:5], v[0:1], s[50:51], v[6:7]
	v_fma_f64 v[8:9], v[0:1], s[22:23], v[6:7]
	s_delay_alu instid0(VALU_DEP_2) | instskip(SKIP_1) | instid1(VALU_DEP_3)
	v_add_f64 v[238:239], v[4:5], v[238:239]
	v_mul_f64 v[4:5], v[2:3], s[24:25]
	v_add_f64 v[242:243], v[8:9], v[242:243]
	s_delay_alu instid0(VALU_DEP_2) | instskip(SKIP_1) | instid1(VALU_DEP_2)
	v_fma_f64 v[6:7], v[20:21], s[26:27], v[4:5]
	v_fma_f64 v[4:5], v[20:21], s[26:27], -v[4:5]
	v_add_f64 v[248:249], v[6:7], v[248:249]
	v_mul_f64 v[6:7], v[22:23], s[26:27]
	s_delay_alu instid0(VALU_DEP_3) | instskip(NEXT) | instid1(VALU_DEP_2)
	v_add_f64 v[244:245], v[4:5], v[244:245]
	v_fma_f64 v[8:9], v[0:1], s[56:57], v[6:7]
	v_fma_f64 v[4:5], v[0:1], s[24:25], v[6:7]
	;; [unrolled: 1-line block ×4, first 2 shown]
	s_delay_alu instid0(VALU_DEP_4) | instskip(SKIP_2) | instid1(VALU_DEP_4)
	v_add_f64 v[250:251], v[8:9], v[250:251]
	v_mul_f64 v[8:9], v[2:3], s[36:37]
	v_add_f64 v[246:247], v[4:5], v[246:247]
	v_add_f64 v[10:11], v[10:11], v[16:17]
	v_mul_f64 v[16:17], v[2:3], s[12:13]
	v_mul_f64 v[2:3], v[2:3], s[52:53]
	v_add_f64 v[6:7], v[6:7], v[254:255]
	v_fma_f64 v[4:5], v[20:21], s[16:17], v[8:9]
	v_fma_f64 v[8:9], v[20:21], s[16:17], -v[8:9]
	s_delay_alu instid0(VALU_DEP_2) | instskip(NEXT) | instid1(VALU_DEP_2)
	v_add_f64 v[4:5], v[4:5], v[252:253]
	v_add_f64 v[8:9], v[8:9], v[18:19]
	v_fma_f64 v[18:19], v[20:21], s[14:15], v[16:17]
	v_fma_f64 v[16:17], v[20:21], s[14:15], -v[16:17]
	s_delay_alu instid0(VALU_DEP_2) | instskip(SKIP_2) | instid1(VALU_DEP_4)
	v_add_f64 v[12:13], v[18:19], v[12:13]
	v_mul_f64 v[18:19], v[22:23], s[14:15]
	v_mul_f64 v[22:23], v[22:23], s[8:9]
	v_add_f64 v[16:17], v[16:17], v[45:46]
	s_delay_alu instid0(VALU_DEP_3) | instskip(NEXT) | instid1(VALU_DEP_3)
	v_fma_f64 v[24:25], v[0:1], s[34:35], v[18:19]
	v_fma_f64 v[26:27], v[0:1], s[10:11], v[22:23]
	v_fma_f64 v[18:19], v[0:1], s[12:13], v[18:19]
	v_fma_f64 v[0:1], v[0:1], s[52:53], v[22:23]
	s_delay_alu instid0(VALU_DEP_4)
	v_add_f64 v[14:15], v[24:25], v[14:15]
	v_fma_f64 v[24:25], v[20:21], s[8:9], v[2:3]
	v_fma_f64 v[2:3], v[20:21], s[8:9], -v[2:3]
	v_add_f64 v[26:27], v[26:27], v[34:35]
	v_add_f64 v[22:23], v[0:1], v[30:31]
	v_add_f64 v[18:19], v[18:19], v[43:44]
	v_add_f64 v[24:25], v[24:25], v[39:40]
	v_add_f64 v[20:21], v[2:3], v[32:33]
	ds_store_b128 v38, v[208:211]
	ds_store_b128 v38, v[220:223] offset:16
	ds_store_b128 v38, v[224:227] offset:32
	;; [unrolled: 1-line block ×16, first 2 shown]
	s_waitcnt lgkmcnt(0)
	s_barrier
	buffer_gl0_inv
	ds_load_b128 v[224:227], v36
	ds_load_b128 v[16:19], v36 offset:4624
	ds_load_b128 v[12:15], v36 offset:9248
	;; [unrolled: 1-line block ×14, first 2 shown]
	s_and_saveexec_b32 s0, vcc_lo
	s_cbranch_execz .LBB0_7
; %bb.6:
	ds_load_b128 v[216:219], v36 offset:4080
	ds_load_b128 v[212:215], v36 offset:8704
	;; [unrolled: 1-line block ×3, first 2 shown]
	s_waitcnt lgkmcnt(0)
	scratch_store_b128 off, v[20:23], off   ; 16-byte Folded Spill
	ds_load_b128 v[20:23], v36 offset:17952
	s_waitcnt lgkmcnt(0)
	scratch_store_b128 off, v[20:23], off offset:16 ; 16-byte Folded Spill
	ds_load_b128 v[20:23], v36 offset:22576
	s_waitcnt lgkmcnt(0)
	scratch_store_b128 off, v[20:23], off offset:32 ; 16-byte Folded Spill
.LBB0_7:
	s_or_b32 exec_lo, exec_lo, s0
	s_waitcnt lgkmcnt(13)
	v_mul_f64 v[20:21], v[142:143], v[18:19]
	s_mov_b32 s10, 0x134454ff
	s_mov_b32 s11, 0xbfee6f0e
	;; [unrolled: 1-line block ×10, first 2 shown]
	s_waitcnt lgkmcnt(0)
	s_waitcnt_vscnt null, 0x0
	s_barrier
	buffer_gl0_inv
	v_fma_f64 v[37:38], v[140:141], v[16:17], v[20:21]
	v_mul_f64 v[16:17], v[142:143], v[16:17]
	s_delay_alu instid0(VALU_DEP_2) | instskip(NEXT) | instid1(VALU_DEP_2)
	v_add_f64 v[72:73], v[224:225], v[37:38]
	v_fma_f64 v[39:40], v[140:141], v[18:19], -v[16:17]
	v_mul_f64 v[16:17], v[154:155], v[14:15]
	s_delay_alu instid0(VALU_DEP_2) | instskip(NEXT) | instid1(VALU_DEP_2)
	v_add_f64 v[74:75], v[226:227], v[39:40]
	v_fma_f64 v[47:48], v[152:153], v[12:13], v[16:17]
	v_mul_f64 v[12:13], v[154:155], v[12:13]
	s_delay_alu instid0(VALU_DEP_2) | instskip(NEXT) | instid1(VALU_DEP_2)
	v_add_f64 v[32:33], v[47:48], -v[37:38]
	v_fma_f64 v[49:50], v[152:153], v[14:15], -v[12:13]
	v_mul_f64 v[12:13], v[158:159], v[10:11]
	v_mul_f64 v[14:15], v[194:195], v[228:229]
	s_delay_alu instid0(VALU_DEP_2) | instskip(SKIP_2) | instid1(VALU_DEP_4)
	v_fma_f64 v[51:52], v[156:157], v[8:9], v[12:13]
	v_mul_f64 v[8:9], v[158:159], v[8:9]
	v_mul_f64 v[12:13], v[194:195], v[230:231]
	v_fma_f64 v[14:15], v[192:193], v[230:231], -v[14:15]
	s_delay_alu instid0(VALU_DEP_4) | instskip(NEXT) | instid1(VALU_DEP_4)
	v_add_f64 v[70:71], v[37:38], -v[51:52]
	v_fma_f64 v[53:54], v[156:157], v[10:11], -v[8:9]
	v_mul_f64 v[8:9], v[150:151], v[2:3]
	v_fma_f64 v[12:13], v[192:193], v[228:229], v[12:13]
	s_delay_alu instid0(VALU_DEP_3) | instskip(NEXT) | instid1(VALU_DEP_3)
	v_add_f64 v[65:66], v[39:40], -v[53:54]
	v_fma_f64 v[55:56], v[148:149], v[0:1], v[8:9]
	v_mul_f64 v[0:1], v[150:151], v[0:1]
	s_delay_alu instid0(VALU_DEP_2) | instskip(NEXT) | instid1(VALU_DEP_2)
	v_add_f64 v[34:35], v[55:56], -v[51:52]
	v_fma_f64 v[57:58], v[148:149], v[2:3], -v[0:1]
	v_add_f64 v[67:68], v[47:48], -v[55:56]
	v_mul_f64 v[0:1], v[162:163], v[6:7]
	v_mul_f64 v[2:3], v[186:187], v[240:241]
	v_add_f64 v[43:44], v[32:33], v[34:35]
	v_add_f64 v[32:33], v[49:50], -v[39:40]
	v_add_f64 v[34:35], v[57:58], -v[53:54]
	;; [unrolled: 1-line block ×3, first 2 shown]
	v_fma_f64 v[16:17], v[160:161], v[4:5], v[0:1]
	v_mul_f64 v[0:1], v[162:163], v[4:5]
	v_mul_f64 v[4:5], v[182:183], v[238:239]
	v_fma_f64 v[2:3], v[184:185], v[242:243], -v[2:3]
	v_add_f64 v[45:46], v[32:33], v[34:35]
	v_add_f64 v[32:33], v[37:38], v[51:52]
	v_add_f64 v[37:38], v[37:38], -v[47:48]
	v_fma_f64 v[18:19], v[160:161], v[6:7], -v[0:1]
	v_mul_f64 v[0:1], v[170:171], v[254:255]
	v_fma_f64 v[6:7], v[180:181], v[236:237], v[4:5]
	v_mul_f64 v[4:5], v[182:183], v[236:237]
	v_fma_f64 v[59:60], v[32:33], -0.5, v[224:225]
	v_add_f64 v[32:33], v[39:40], v[53:54]
	v_add_f64 v[39:40], v[39:40], -v[49:50]
	v_fma_f64 v[22:23], v[168:169], v[252:253], v[0:1]
	v_mul_f64 v[0:1], v[170:171], v[252:253]
	v_fma_f64 v[10:11], v[180:181], v[238:239], -v[4:5]
	v_mul_f64 v[4:5], v[190:191], v[234:235]
	v_fma_f64 v[61:62], v[32:33], -0.5, v[226:227]
	v_fma_f64 v[32:33], v[63:64], s[12:13], v[59:60]
	v_fma_f64 v[59:60], v[63:64], s[10:11], v[59:60]
	v_fma_f64 v[26:27], v[168:169], v[254:255], -v[0:1]
	v_mul_f64 v[0:1], v[174:175], v[250:251]
	v_fma_f64 v[8:9], v[188:189], v[232:233], v[4:5]
	v_mul_f64 v[4:5], v[190:191], v[232:233]
	v_fma_f64 v[34:35], v[67:68], s[10:11], v[61:62]
	v_fma_f64 v[32:33], v[65:66], s[0:1], v[32:33]
	;; [unrolled: 1-line block ×5, first 2 shown]
	v_mul_f64 v[0:1], v[174:175], v[248:249]
	v_fma_f64 v[4:5], v[188:189], v[234:235], -v[4:5]
	v_fma_f64 v[34:35], v[70:71], s[8:9], v[34:35]
	v_fma_f64 v[32:33], v[43:44], s[14:15], v[32:33]
	;; [unrolled: 1-line block ×4, first 2 shown]
	v_add_f64 v[59:60], v[47:48], v[55:56]
	v_add_f64 v[47:48], v[72:73], v[47:48]
	;; [unrolled: 1-line block ×3, first 2 shown]
	v_fma_f64 v[20:21], v[172:173], v[250:251], -v[0:1]
	v_mul_f64 v[0:1], v[178:179], v[246:247]
	v_fma_f64 v[34:35], v[45:46], s[14:15], v[34:35]
	v_fma_f64 v[45:46], v[45:46], s[14:15], v[61:62]
	v_add_f64 v[61:62], v[49:50], v[57:58]
	v_fma_f64 v[59:60], v[59:60], -0.5, v[224:225]
	v_add_f64 v[47:48], v[47:48], v[55:56]
	v_add_f64 v[49:50], v[72:73], v[57:58]
	v_add_f64 v[55:56], v[51:52], -v[55:56]
	v_fma_f64 v[28:29], v[176:177], v[244:245], v[0:1]
	v_mul_f64 v[0:1], v[178:179], v[244:245]
	v_fma_f64 v[61:62], v[61:62], -0.5, v[226:227]
	v_add_f64 v[47:48], v[47:48], v[51:52]
	v_add_f64 v[49:50], v[49:50], v[53:54]
	v_add_f64 v[51:52], v[53:54], -v[57:58]
	v_fma_f64 v[53:54], v[65:66], s[10:11], v[59:60]
	v_fma_f64 v[57:58], v[65:66], s[12:13], v[59:60]
	v_add_f64 v[37:38], v[37:38], v[55:56]
	v_fma_f64 v[30:31], v[176:177], v[246:247], -v[0:1]
	v_mul_f64 v[0:1], v[186:187], v[242:243]
	v_fma_f64 v[59:60], v[70:71], s[12:13], v[61:62]
	v_fma_f64 v[61:62], v[70:71], s[10:11], v[61:62]
	v_add_f64 v[39:40], v[39:40], v[51:52]
	v_fma_f64 v[51:52], v[63:64], s[0:1], v[53:54]
	v_fma_f64 v[53:54], v[63:64], s[8:9], v[57:58]
	;; [unrolled: 1-line block ×5, first 2 shown]
	v_add_f64 v[59:60], v[22:23], -v[16:17]
	v_add_f64 v[61:62], v[210:211], v[2:3]
	v_fma_f64 v[140:141], v[37:38], s[14:15], v[51:52]
	v_fma_f64 v[148:149], v[37:38], s[14:15], v[53:54]
	scratch_load_b32 v37, off, off offset:340 ; 4-byte Folded Reload
	v_add_f64 v[51:52], v[16:17], -v[28:29]
	v_add_f64 v[53:54], v[22:23], -v[24:25]
	;; [unrolled: 1-line block ×3, first 2 shown]
	v_fma_f64 v[142:143], v[39:40], s[14:15], v[55:56]
	v_fma_f64 v[150:151], v[39:40], s[14:15], v[57:58]
	v_add_f64 v[55:56], v[220:221], v[16:17]
	v_add_f64 v[57:58], v[222:223], v[18:19]
	s_waitcnt vmcnt(0)
	ds_store_b128 v37, v[47:50]
	ds_store_b128 v37, v[140:143] offset:272
	ds_store_b128 v37, v[32:35] offset:544
	;; [unrolled: 1-line block ×4, first 2 shown]
	v_add_f64 v[32:33], v[16:17], -v[22:23]
	v_add_f64 v[34:35], v[28:29], -v[24:25]
	v_add_f64 v[47:48], v[18:19], -v[30:31]
	v_add_f64 v[49:50], v[26:27], -v[20:21]
	s_delay_alu instid0(VALU_DEP_3) | instskip(SKIP_2) | instid1(VALU_DEP_1)
	v_add_f64 v[37:38], v[32:33], v[34:35]
	v_add_f64 v[32:33], v[18:19], -v[26:27]
	v_add_f64 v[34:35], v[30:31], -v[20:21]
	v_add_f64 v[39:40], v[32:33], v[34:35]
	v_add_f64 v[32:33], v[22:23], v[24:25]
	s_delay_alu instid0(VALU_DEP_1) | instskip(SKIP_1) | instid1(VALU_DEP_1)
	v_fma_f64 v[43:44], v[32:33], -0.5, v[220:221]
	v_add_f64 v[32:33], v[26:27], v[20:21]
	v_fma_f64 v[45:46], v[32:33], -0.5, v[222:223]
	s_delay_alu instid0(VALU_DEP_3) | instskip(SKIP_1) | instid1(VALU_DEP_3)
	v_fma_f64 v[32:33], v[47:48], s[10:11], v[43:44]
	v_fma_f64 v[43:44], v[47:48], s[12:13], v[43:44]
	;; [unrolled: 1-line block ×4, first 2 shown]
	s_delay_alu instid0(VALU_DEP_4) | instskip(NEXT) | instid1(VALU_DEP_4)
	v_fma_f64 v[32:33], v[49:50], s[0:1], v[32:33]
	v_fma_f64 v[43:44], v[49:50], s[8:9], v[43:44]
	s_delay_alu instid0(VALU_DEP_4) | instskip(NEXT) | instid1(VALU_DEP_4)
	v_fma_f64 v[34:35], v[53:54], s[8:9], v[34:35]
	v_fma_f64 v[45:46], v[53:54], s[0:1], v[45:46]
	;; [unrolled: 3-line block ×3, first 2 shown]
	v_add_f64 v[37:38], v[16:17], v[28:29]
	v_add_f64 v[16:17], v[55:56], v[22:23]
	v_add_f64 v[22:23], v[57:58], v[26:27]
	v_add_f64 v[26:27], v[26:27], -v[18:19]
	v_add_f64 v[55:56], v[6:7], -v[8:9]
	;; [unrolled: 1-line block ×3, first 2 shown]
	v_fma_f64 v[34:35], v[39:40], s[14:15], v[34:35]
	v_fma_f64 v[45:46], v[39:40], s[14:15], v[45:46]
	v_add_f64 v[39:40], v[18:19], v[30:31]
	v_fma_f64 v[37:38], v[37:38], -0.5, v[220:221]
	v_add_f64 v[16:17], v[16:17], v[24:25]
	v_add_f64 v[18:19], v[22:23], v[20:21]
	v_add_f64 v[22:23], v[24:25], -v[28:29]
	v_add_f64 v[20:21], v[20:21], -v[30:31]
	v_fma_f64 v[39:40], v[39:40], -0.5, v[222:223]
	v_fma_f64 v[24:25], v[49:50], s[12:13], v[37:38]
	v_add_f64 v[16:17], v[16:17], v[28:29]
	v_add_f64 v[18:19], v[18:19], v[30:31]
	v_fma_f64 v[28:29], v[49:50], s[10:11], v[37:38]
	v_add_f64 v[26:27], v[26:27], v[20:21]
	v_fma_f64 v[30:31], v[53:54], s[10:11], v[39:40]
	v_fma_f64 v[37:38], v[53:54], s[12:13], v[39:40]
	v_add_f64 v[39:40], v[59:60], v[22:23]
	v_fma_f64 v[20:21], v[47:48], s[0:1], v[24:25]
	v_add_f64 v[53:54], v[2:3], -v[14:15]
	v_fma_f64 v[24:25], v[47:48], s[8:9], v[28:29]
	v_add_f64 v[59:60], v[208:209], v[0:1]
	v_fma_f64 v[22:23], v[51:52], s[8:9], v[30:31]
	v_fma_f64 v[28:29], v[51:52], s[0:1], v[37:38]
	v_add_f64 v[30:31], v[8:9], -v[12:13]
	v_fma_f64 v[20:21], v[39:40], s[14:15], v[20:21]
	v_add_f64 v[51:52], v[10:11], -v[4:5]
	v_fma_f64 v[24:25], v[39:40], s[14:15], v[24:25]
	v_fma_f64 v[22:23], v[26:27], s[14:15], v[22:23]
	;; [unrolled: 1-line block ×3, first 2 shown]
	v_add_f64 v[28:29], v[6:7], -v[0:1]
	s_delay_alu instid0(VALU_DEP_1) | instskip(SKIP_2) | instid1(VALU_DEP_1)
	v_add_f64 v[37:38], v[28:29], v[30:31]
	v_add_f64 v[28:29], v[10:11], -v[2:3]
	v_add_f64 v[30:31], v[4:5], -v[14:15]
	v_add_f64 v[39:40], v[28:29], v[30:31]
	v_add_f64 v[28:29], v[0:1], v[12:13]
	;; [unrolled: 1-line block ×3, first 2 shown]
	s_delay_alu instid0(VALU_DEP_2) | instskip(SKIP_1) | instid1(VALU_DEP_3)
	v_fma_f64 v[47:48], v[28:29], -0.5, v[208:209]
	v_add_f64 v[28:29], v[2:3], v[14:15]
	v_add_f64 v[0:1], v[0:1], v[8:9]
	s_delay_alu instid0(VALU_DEP_2) | instskip(NEXT) | instid1(VALU_DEP_4)
	v_fma_f64 v[49:50], v[28:29], -0.5, v[210:211]
	v_fma_f64 v[28:29], v[51:52], s[12:13], v[47:48]
	v_fma_f64 v[47:48], v[51:52], s[10:11], v[47:48]
	s_delay_alu instid0(VALU_DEP_4) | instskip(NEXT) | instid1(VALU_DEP_4)
	v_add_f64 v[0:1], v[0:1], v[12:13]
	v_fma_f64 v[30:31], v[55:56], s[10:11], v[49:50]
	v_fma_f64 v[49:50], v[55:56], s[12:13], v[49:50]
	;; [unrolled: 1-line block ×4, first 2 shown]
	s_delay_alu instid0(VALU_DEP_4) | instskip(NEXT) | instid1(VALU_DEP_4)
	v_fma_f64 v[30:31], v[57:58], s[8:9], v[30:31]
	v_fma_f64 v[49:50], v[57:58], s[0:1], v[49:50]
	s_delay_alu instid0(VALU_DEP_4) | instskip(NEXT) | instid1(VALU_DEP_4)
	v_fma_f64 v[28:29], v[37:38], s[14:15], v[28:29]
	v_fma_f64 v[47:48], v[37:38], s[14:15], v[47:48]
	v_add_f64 v[37:38], v[6:7], v[8:9]
	v_add_f64 v[6:7], v[61:62], v[10:11]
	v_fma_f64 v[30:31], v[39:40], s[14:15], v[30:31]
	v_fma_f64 v[49:50], v[39:40], s[14:15], v[49:50]
	v_add_f64 v[39:40], v[10:11], v[4:5]
	v_add_f64 v[10:11], v[2:3], -v[10:11]
	v_fma_f64 v[37:38], v[37:38], -0.5, v[208:209]
	v_add_f64 v[2:3], v[6:7], v[4:5]
	v_add_f64 v[6:7], v[12:13], -v[8:9]
	v_add_f64 v[4:5], v[14:15], -v[4:5]
	v_fma_f64 v[39:40], v[39:40], -0.5, v[210:211]
	v_fma_f64 v[8:9], v[53:54], s[10:11], v[37:38]
	v_add_f64 v[2:3], v[2:3], v[14:15]
	v_fma_f64 v[12:13], v[53:54], s[12:13], v[37:38]
	v_add_f64 v[10:11], v[10:11], v[4:5]
	v_fma_f64 v[14:15], v[57:58], s[12:13], v[39:40]
	v_fma_f64 v[37:38], v[57:58], s[10:11], v[39:40]
	v_add_f64 v[39:40], v[63:64], v[6:7]
	v_fma_f64 v[4:5], v[51:52], s[0:1], v[8:9]
	v_fma_f64 v[8:9], v[51:52], s[8:9], v[12:13]
	;; [unrolled: 1-line block ×4, first 2 shown]
	s_delay_alu instid0(VALU_DEP_4) | instskip(NEXT) | instid1(VALU_DEP_4)
	v_fma_f64 v[4:5], v[39:40], s[14:15], v[4:5]
	v_fma_f64 v[8:9], v[39:40], s[14:15], v[8:9]
	s_delay_alu instid0(VALU_DEP_4) | instskip(NEXT) | instid1(VALU_DEP_4)
	v_fma_f64 v[6:7], v[10:11], s[14:15], v[6:7]
	v_fma_f64 v[10:11], v[10:11], s[14:15], v[12:13]
	ds_store_b128 v42, v[16:19]
	ds_store_b128 v42, v[32:35] offset:272
	ds_store_b128 v42, v[20:23] offset:544
	;; [unrolled: 1-line block ×4, first 2 shown]
	ds_store_b128 v69, v[0:3]
	ds_store_b128 v69, v[4:7] offset:272
	ds_store_b128 v69, v[28:31] offset:544
	;; [unrolled: 1-line block ×4, first 2 shown]
	s_and_saveexec_b32 s16, vcc_lo
	s_cbranch_execz .LBB0_9
; %bb.8:
	s_clause 0x6
	scratch_load_b128 v[20:23], off, off offset:384
	scratch_load_b128 v[32:35], off, off
	scratch_load_b128 v[16:19], off, off offset:368
	scratch_load_b128 v[28:31], off, off offset:416
	scratch_load_b128 v[41:44], off, off offset:32
	scratch_load_b128 v[24:27], off, off offset:400
	scratch_load_b128 v[37:40], off, off offset:16
	s_waitcnt vmcnt(5)
	v_mul_f64 v[0:1], v[22:23], v[32:33]
	s_waitcnt vmcnt(4)
	v_mul_f64 v[2:3], v[18:19], v[212:213]
	;; [unrolled: 2-line block ×4, first 2 shown]
	v_mul_f64 v[8:9], v[22:23], v[34:35]
	v_mul_f64 v[10:11], v[26:27], v[39:40]
	;; [unrolled: 1-line block ×4, first 2 shown]
	v_fma_f64 v[0:1], v[20:21], v[34:35], -v[0:1]
	v_fma_f64 v[2:3], v[16:17], v[214:215], -v[2:3]
	;; [unrolled: 1-line block ×4, first 2 shown]
	v_fma_f64 v[8:9], v[20:21], v[32:33], v[8:9]
	v_fma_f64 v[10:11], v[24:25], v[37:38], v[10:11]
	v_fma_f64 v[12:13], v[16:17], v[212:213], v[12:13]
	v_fma_f64 v[14:15], v[28:29], v[41:42], v[14:15]
	v_add_f64 v[28:29], v[218:219], v[2:3]
	v_add_f64 v[16:17], v[2:3], v[4:5]
	;; [unrolled: 1-line block ×3, first 2 shown]
	v_add_f64 v[32:33], v[2:3], -v[4:5]
	v_add_f64 v[20:21], v[8:9], v[10:11]
	v_add_f64 v[24:25], v[8:9], -v[10:11]
	v_add_f64 v[26:27], v[12:13], -v[14:15]
	v_add_f64 v[30:31], v[216:217], v[12:13]
	v_add_f64 v[22:23], v[12:13], v[14:15]
	v_add_f64 v[34:35], v[0:1], -v[6:7]
	v_add_f64 v[37:38], v[0:1], -v[2:3]
	;; [unrolled: 1-line block ×9, first 2 shown]
	v_add_f64 v[0:1], v[28:29], v[0:1]
	v_fma_f64 v[16:17], v[16:17], -0.5, v[218:219]
	v_fma_f64 v[18:19], v[18:19], -0.5, v[218:219]
	;; [unrolled: 1-line block ×3, first 2 shown]
	v_add_f64 v[8:9], v[30:31], v[8:9]
	v_fma_f64 v[22:23], v[22:23], -0.5, v[216:217]
	v_add_f64 v[37:38], v[37:38], v[39:40]
	v_add_f64 v[39:40], v[2:3], v[41:42]
	v_add_f64 v[12:13], v[12:13], v[47:48]
	v_add_f64 v[41:42], v[43:44], v[45:46]
	v_add_f64 v[0:1], v[0:1], v[6:7]
	v_fma_f64 v[28:29], v[24:25], s[12:13], v[16:17]
	v_fma_f64 v[16:17], v[24:25], s[10:11], v[16:17]
	;; [unrolled: 1-line block ×6, first 2 shown]
	v_add_f64 v[6:7], v[8:9], v[10:11]
	v_fma_f64 v[51:52], v[34:35], s[12:13], v[22:23]
	v_fma_f64 v[22:23], v[34:35], s[10:11], v[22:23]
	v_add_f64 v[2:3], v[0:1], v[4:5]
	v_fma_f64 v[8:9], v[26:27], s[0:1], v[28:29]
	v_fma_f64 v[10:11], v[26:27], s[8:9], v[16:17]
	;; [unrolled: 1-line block ×6, first 2 shown]
	v_add_f64 v[0:1], v[6:7], v[14:15]
	v_fma_f64 v[26:27], v[32:33], s[0:1], v[51:52]
	v_fma_f64 v[22:23], v[32:33], s[8:9], v[22:23]
	;; [unrolled: 1-line block ×8, first 2 shown]
	s_clause 0x1
	scratch_load_b32 v20, off, off offset:332
	scratch_load_b32 v21, off, off offset:336
	v_fma_f64 v[8:9], v[41:42], s[14:15], v[26:27]
	v_fma_f64 v[4:5], v[41:42], s[14:15], v[22:23]
	s_waitcnt vmcnt(0)
	v_mad_u16 v20, 0x55, v20, v21
	s_delay_alu instid0(VALU_DEP_1) | instskip(NEXT) | instid1(VALU_DEP_1)
	v_and_b32_e32 v20, 0xffff, v20
	v_lshlrev_b32_e32 v20, 4, v20
	ds_store_b128 v20, v[0:3]
	ds_store_b128 v20, v[16:19] offset:272
	ds_store_b128 v20, v[8:11] offset:544
	;; [unrolled: 1-line block ×4, first 2 shown]
.LBB0_9:
	s_or_b32 exec_lo, exec_lo, s16
	s_waitcnt lgkmcnt(0)
	s_barrier
	buffer_gl0_inv
	ds_load_b128 v[0:3], v36 offset:1360
	ds_load_b128 v[4:7], v36 offset:21760
	ds_load_b128 v[68:71], v36
	ds_load_b128 v[8:11], v36 offset:2720
	ds_load_b128 v[16:19], v36 offset:4080
	;; [unrolled: 1-line block ×14, first 2 shown]
	s_mov_b32 s8, 0x5d8e7cdc
	s_mov_b32 s10, 0x370991
	;; [unrolled: 1-line block ×4, first 2 shown]
	s_waitcnt lgkmcnt(16)
	v_mul_f64 v[14:15], v[134:135], v[0:1]
	v_mul_f64 v[12:13], v[134:135], v[2:3]
	s_waitcnt lgkmcnt(15)
	v_mul_f64 v[49:50], v[146:147], v[4:5]
	s_waitcnt lgkmcnt(13)
	v_mul_f64 v[51:52], v[94:95], v[8:9]
	v_mul_f64 v[55:56], v[94:95], v[10:11]
	s_waitcnt lgkmcnt(12)
	v_mul_f64 v[59:60], v[90:91], v[16:17]
	;; [unrolled: 5-line block ×3, first 2 shown]
	v_mul_f64 v[82:83], v[114:115], v[24:25]
	s_waitcnt lgkmcnt(9)
	v_mul_f64 v[86:87], v[106:107], v[30:31]
	s_waitcnt lgkmcnt(5)
	v_mul_f64 v[114:115], v[122:123], v[45:46]
	s_mov_b32 s20, 0x7c9e640b
	s_mov_b32 s22, 0x2b2883cd
	;; [unrolled: 1-line block ×3, first 2 shown]
	s_waitcnt lgkmcnt(0)
	v_mul_f64 v[53:54], v[138:139], v[76:77]
	s_mov_b32 s11, 0x3fedd6d0
	s_mov_b32 s15, 0xbfe58eea
	;; [unrolled: 1-line block ×5, first 2 shown]
	v_mul_f64 v[94:95], v[102:103], v[34:35]
	v_mul_f64 v[102:103], v[102:103], v[32:33]
	;; [unrolled: 1-line block ×4, first 2 shown]
	s_mov_b32 s24, 0xeb564b22
	s_mov_b32 s26, 0x3259b75e
	;; [unrolled: 1-line block ×13, first 2 shown]
	v_fma_f64 v[14:15], v[132:133], v[2:3], -v[14:15]
	v_fma_f64 v[57:58], v[132:133], v[0:1], v[12:13]
	v_mul_f64 v[2:3], v[146:147], v[6:7]
	v_fma_f64 v[51:52], v[92:93], v[10:11], -v[51:52]
	v_fma_f64 v[0:1], v[144:145], v[6:7], -v[49:50]
	v_mul_f64 v[49:50], v[90:91], v[18:19]
	v_mul_f64 v[10:11], v[98:99], v[39:40]
	v_fma_f64 v[55:56], v[92:93], v[8:9], v[55:56]
	v_fma_f64 v[59:60], v[88:89], v[18:19], -v[59:60]
	v_mul_f64 v[6:7], v[138:139], v[78:79]
	v_mul_f64 v[90:91], v[106:107], v[28:29]
	;; [unrolled: 1-line block ×3, first 2 shown]
	v_fma_f64 v[63:64], v[84:85], v[22:23], -v[63:64]
	v_fma_f64 v[61:62], v[84:85], v[20:21], v[61:62]
	v_mul_f64 v[122:123], v[118:119], v[74:75]
	v_fma_f64 v[12:13], v[136:137], v[78:79], -v[53:54]
	v_mul_f64 v[53:54], v[98:99], v[37:38]
	v_mul_f64 v[78:79], v[126:127], v[43:44]
	;; [unrolled: 1-line block ×7, first 2 shown]
	v_fma_f64 v[80:81], v[112:113], v[24:25], v[65:66]
	v_fma_f64 v[65:66], v[112:113], v[26:27], -v[82:83]
	v_fma_f64 v[22:23], v[104:105], v[28:29], v[86:87]
	v_fma_f64 v[28:29], v[120:121], v[47:48], -v[114:115]
	s_mov_b32 s25, 0xbfefdd0d
	s_mov_b32 s27, 0x3fb79ee6
	s_mov_b32 s31, 0xbfeec746
	s_mov_b32 s35, 0xbfd183b1
	s_mov_b32 s37, 0xbfe9895b
	s_mov_b32 s43, 0xbfe348c8
	s_mov_b32 s41, 0xbfe0d888
	s_mov_b32 s49, 0xbfeb34fa
	s_mov_b32 s47, 0xbfc7851a
	s_mov_b32 s53, 0xbfef7484
	s_mov_b32 s0, s8
	v_add_f64 v[132:133], v[70:71], v[14:15]
	v_add_f64 v[92:93], v[68:69], v[57:58]
	v_fma_f64 v[2:3], v[144:145], v[4:5], v[2:3]
	v_mul_f64 v[144:145], v[166:167], v[150:151]
	v_add_f64 v[134:135], v[14:15], -v[0:1]
	v_fma_f64 v[49:50], v[88:89], v[16:17], v[49:50]
	v_fma_f64 v[4:5], v[96:97], v[37:38], v[10:11]
	v_add_f64 v[138:139], v[14:15], v[0:1]
	s_mov_b32 s12, s14
	v_fma_f64 v[14:15], v[136:137], v[76:77], v[6:7]
	s_mov_b32 s18, s20
	v_fma_f64 v[26:27], v[120:121], v[45:46], v[106:107]
	v_fma_f64 v[76:77], v[104:105], v[30:31], -v[90:91]
	v_fma_f64 v[20:21], v[100:101], v[32:33], v[94:95]
	v_fma_f64 v[24:25], v[100:101], v[34:35], -v[102:103]
	v_add_f64 v[82:83], v[51:52], -v[12:13]
	v_fma_f64 v[8:9], v[96:97], v[39:40], -v[53:54]
	v_add_f64 v[84:85], v[51:52], v[12:13]
	v_fma_f64 v[6:7], v[124:125], v[41:42], v[78:79]
	v_fma_f64 v[10:11], v[124:125], v[43:44], -v[98:99]
	v_fma_f64 v[30:31], v[116:117], v[72:73], v[122:123]
	v_fma_f64 v[78:79], v[116:117], v[74:75], -v[118:119]
	;; [unrolled: 2-line block ×3, first 2 shown]
	v_fma_f64 v[32:33], v[164:165], v[150:151], -v[146:147]
	v_fma_f64 v[16:17], v[128:129], v[154:155], -v[130:131]
	s_mov_b32 s29, 0x3fefdd0d
	s_mov_b32 s39, 0x3feec746
	;; [unrolled: 1-line block ×9, first 2 shown]
	v_fma_f64 v[18:19], v[128:129], v[152:153], v[156:157]
	v_add_f64 v[39:40], v[132:133], v[51:52]
	v_add_f64 v[37:38], v[92:93], v[55:56]
	;; [unrolled: 1-line block ×3, first 2 shown]
	v_add_f64 v[43:44], v[57:58], -v[2:3]
	v_mul_f64 v[45:46], v[134:135], s[8:9]
	v_mul_f64 v[51:52], v[134:135], s[14:15]
	;; [unrolled: 1-line block ×6, first 2 shown]
	v_fma_f64 v[34:35], v[164:165], v[148:149], v[144:145]
	v_add_f64 v[88:89], v[55:56], v[14:15]
	v_add_f64 v[55:56], v[55:56], -v[14:15]
	v_mul_f64 v[90:91], v[134:135], s[24:25]
	v_mul_f64 v[92:93], v[138:139], s[26:27]
	v_mul_f64 v[94:95], v[134:135], s[30:31]
	v_mul_f64 v[96:97], v[138:139], s[34:35]
	v_mul_f64 v[98:99], v[134:135], s[36:37]
	v_mul_f64 v[100:101], v[138:139], s[42:43]
	v_mul_f64 v[102:103], v[134:135], s[40:41]
	v_mul_f64 v[104:105], v[138:139], s[48:49]
	v_mul_f64 v[106:107], v[134:135], s[46:47]
	v_mul_f64 v[108:109], v[138:139], s[52:53]
	v_mul_f64 v[110:111], v[82:83], s[14:15]
	v_mul_f64 v[112:113], v[84:85], s[16:17]
	v_mul_f64 v[114:115], v[82:83], s[24:25]
	v_mul_f64 v[116:117], v[84:85], s[26:27]
	v_mul_f64 v[118:119], v[82:83], s[36:37]
	v_mul_f64 v[120:121], v[84:85], s[42:43]
	v_mul_f64 v[122:123], v[82:83], s[46:47]
	v_mul_f64 v[124:125], v[84:85], s[52:53]
	v_mul_f64 v[126:127], v[82:83], s[50:51]
	v_mul_f64 v[128:129], v[84:85], s[48:49]
	v_mul_f64 v[130:131], v[82:83], s[38:39]
	v_mul_f64 v[132:133], v[84:85], s[34:35]
	v_mul_f64 v[134:135], v[82:83], s[18:19]
	v_mul_f64 v[136:137], v[84:85], s[22:23]
	v_add_f64 v[178:179], v[59:60], -v[16:17]
	v_add_f64 v[39:40], v[39:40], v[59:60]
	v_add_f64 v[37:38], v[37:38], v[49:50]
	;; [unrolled: 1-line block ×3, first 2 shown]
	v_mul_f64 v[82:83], v[82:83], s[0:1]
	v_fma_f64 v[138:139], v[41:42], s[10:11], v[45:46]
	v_fma_f64 v[45:46], v[41:42], s[10:11], -v[45:46]
	v_fma_f64 v[142:143], v[41:42], s[16:17], v[51:52]
	v_fma_f64 v[140:141], v[43:44], s[0:1], v[47:48]
	;; [unrolled: 1-line block ×4, first 2 shown]
	v_fma_f64 v[51:52], v[41:42], s[16:17], -v[51:52]
	v_fma_f64 v[53:54], v[43:44], s[14:15], v[53:54]
	v_fma_f64 v[146:147], v[41:42], s[22:23], v[57:58]
	v_fma_f64 v[148:149], v[43:44], s[18:19], v[86:87]
	v_fma_f64 v[57:58], v[41:42], s[22:23], -v[57:58]
	v_fma_f64 v[86:87], v[43:44], s[20:21], v[86:87]
	v_fma_f64 v[150:151], v[41:42], s[26:27], v[90:91]
	v_fma_f64 v[152:153], v[43:44], s[28:29], v[92:93]
	;; [unrolled: 4-line block ×7, first 2 shown]
	v_add_f64 v[39:40], v[39:40], v[63:64]
	v_add_f64 v[37:38], v[37:38], v[61:62]
	v_fma_f64 v[110:111], v[88:89], s[16:17], -v[110:111]
	v_fma_f64 v[112:113], v[55:56], s[14:15], v[112:113]
	v_fma_f64 v[170:171], v[88:89], s[26:27], v[114:115]
	;; [unrolled: 1-line block ×3, first 2 shown]
	v_fma_f64 v[114:115], v[88:89], s[26:27], -v[114:115]
	v_fma_f64 v[116:117], v[55:56], s[24:25], v[116:117]
	v_fma_f64 v[174:175], v[88:89], s[42:43], v[118:119]
	;; [unrolled: 1-line block ×3, first 2 shown]
	v_add_f64 v[138:139], v[68:69], v[138:139]
	v_add_f64 v[140:141], v[70:71], v[140:141]
	;; [unrolled: 1-line block ×10, first 2 shown]
	v_mul_f64 v[84:85], v[84:85], s[10:11]
	v_add_f64 v[57:58], v[68:69], v[57:58]
	v_add_f64 v[86:87], v[70:71], v[86:87]
	;; [unrolled: 1-line block ×34, first 2 shown]
	v_fma_f64 v[114:115], v[88:89], s[42:43], -v[118:119]
	v_fma_f64 v[116:117], v[55:56], s[36:37], v[120:121]
	v_fma_f64 v[118:119], v[88:89], s[52:53], v[122:123]
	v_fma_f64 v[120:121], v[55:56], s[54:55], v[124:125]
	v_fma_f64 v[122:123], v[88:89], s[52:53], -v[122:123]
	v_fma_f64 v[124:125], v[55:56], s[46:47], v[124:125]
	v_fma_f64 v[138:139], v[88:89], s[48:49], v[126:127]
	v_fma_f64 v[140:141], v[55:56], s[40:41], v[128:129]
	;; [unrolled: 4-line block ×4, first 2 shown]
	v_fma_f64 v[134:135], v[88:89], s[22:23], -v[134:135]
	v_fma_f64 v[136:137], v[55:56], s[18:19], v[136:137]
	v_add_f64 v[39:40], v[39:40], v[76:77]
	v_add_f64 v[37:38], v[37:38], v[22:23]
	;; [unrolled: 1-line block ×3, first 2 shown]
	v_mul_f64 v[172:173], v[178:179], s[20:21]
	v_add_f64 v[49:50], v[49:50], -v[18:19]
	v_mul_f64 v[174:175], v[59:60], s[22:23]
	v_fma_f64 v[176:177], v[88:89], s[10:11], v[82:83]
	v_fma_f64 v[180:181], v[55:56], s[8:9], v[84:85]
	v_fma_f64 v[82:83], v[88:89], s[10:11], -v[82:83]
	v_mul_f64 v[88:89], v[178:179], s[36:37]
	v_fma_f64 v[55:56], v[55:56], s[0:1], v[84:85]
	v_mul_f64 v[84:85], v[59:60], s[42:43]
	v_add_f64 v[57:58], v[114:115], v[57:58]
	v_mul_f64 v[114:115], v[178:179], s[54:55]
	v_add_f64 v[86:87], v[116:117], v[86:87]
	v_add_f64 v[118:119], v[118:119], v[150:151]
	;; [unrolled: 1-line block ×5, first 2 shown]
	v_mul_f64 v[124:125], v[59:60], s[52:53]
	v_add_f64 v[138:139], v[138:139], v[154:155]
	v_mul_f64 v[154:155], v[178:179], s[38:39]
	v_add_f64 v[140:141], v[140:141], v[156:157]
	;; [unrolled: 2-line block ×6, first 2 shown]
	v_add_f64 v[37:38], v[37:38], v[20:21]
	v_add_f64 v[144:145], v[144:145], v[160:161]
	v_fma_f64 v[116:117], v[170:171], s[22:23], v[172:173]
	v_fma_f64 v[172:173], v[170:171], s[22:23], -v[172:173]
	v_fma_f64 v[150:151], v[49:50], s[18:19], v[174:175]
	v_fma_f64 v[174:175], v[49:50], s[20:21], v[174:175]
	v_mul_f64 v[160:161], v[59:60], s[10:11]
	v_add_f64 v[98:99], v[130:131], v[98:99]
	v_fma_f64 v[152:153], v[170:171], s[42:43], v[88:89]
	v_add_f64 v[100:101], v[132:133], v[100:101]
	v_fma_f64 v[122:123], v[49:50], s[44:45], v[84:85]
	v_mul_f64 v[130:131], v[178:179], s[24:25]
	v_mul_f64 v[132:133], v[59:60], s[26:27]
	v_add_f64 v[146:147], v[146:147], v[162:163]
	v_mul_f64 v[162:163], v[178:179], s[40:41]
	v_mul_f64 v[59:60], v[59:60], s[48:49]
	v_add_f64 v[104:105], v[136:137], v[104:105]
	v_add_f64 v[136:137], v[63:64], -v[32:33]
	v_add_f64 v[63:64], v[63:64], v[32:33]
	v_add_f64 v[148:149], v[148:149], v[164:165]
	;; [unrolled: 1-line block ×7, first 2 shown]
	v_fma_f64 v[88:89], v[170:171], s[42:43], -v[88:89]
	v_fma_f64 v[84:85], v[49:50], s[36:37], v[84:85]
	v_fma_f64 v[166:167], v[170:171], s[10:11], v[158:159]
	v_add_f64 v[39:40], v[39:40], v[8:9]
	v_add_f64 v[37:38], v[37:38], v[4:5]
	v_fma_f64 v[158:159], v[170:171], s[10:11], -v[158:159]
	v_add_f64 v[55:56], v[116:117], v[67:68]
	v_add_f64 v[45:46], v[172:173], v[45:46]
	;; [unrolled: 1-line block ×4, first 2 shown]
	v_fma_f64 v[116:117], v[49:50], s[54:55], v[124:125]
	v_fma_f64 v[150:151], v[170:171], s[34:35], -v[154:155]
	v_add_f64 v[69:70], v[152:153], v[106:107]
	v_fma_f64 v[106:107], v[170:171], s[52:53], v[114:115]
	v_add_f64 v[82:83], v[122:123], v[108:109]
	v_fma_f64 v[108:109], v[49:50], s[46:47], v[124:125]
	v_fma_f64 v[114:115], v[170:171], s[52:53], -v[114:115]
	v_fma_f64 v[122:123], v[170:171], s[34:35], v[154:155]
	v_fma_f64 v[124:125], v[49:50], s[30:31], v[156:157]
	;; [unrolled: 1-line block ×5, first 2 shown]
	v_fma_f64 v[126:127], v[170:171], s[16:17], -v[126:127]
	v_fma_f64 v[128:129], v[49:50], s[12:13], v[128:129]
	v_fma_f64 v[168:169], v[49:50], s[0:1], v[160:161]
	;; [unrolled: 1-line block ×5, first 2 shown]
	v_fma_f64 v[130:131], v[170:171], s[26:27], -v[130:131]
	v_fma_f64 v[132:133], v[49:50], s[24:25], v[132:133]
	v_fma_f64 v[176:177], v[170:171], s[48:49], v[162:163]
	;; [unrolled: 1-line block ×3, first 2 shown]
	v_fma_f64 v[162:163], v[170:171], s[48:49], -v[162:163]
	v_fma_f64 v[49:50], v[49:50], s[40:41], v[59:60]
	v_add_f64 v[59:60], v[61:62], v[34:35]
	v_mul_f64 v[170:171], v[136:137], s[24:25]
	v_add_f64 v[61:62], v[61:62], -v[34:35]
	v_mul_f64 v[180:181], v[63:64], s[26:27]
	v_add_f64 v[51:52], v[88:89], v[51:52]
	v_mul_f64 v[88:89], v[136:137], s[46:47]
	v_add_f64 v[53:54], v[84:85], v[53:54]
	v_add_f64 v[39:40], v[39:40], v[10:11]
	;; [unrolled: 1-line block ×3, first 2 shown]
	v_mul_f64 v[84:85], v[63:64], s[52:53]
	v_add_f64 v[142:143], v[166:167], v[142:143]
	v_mul_f64 v[166:167], v[63:64], s[42:43]
	v_add_f64 v[98:99], v[158:159], v[98:99]
	v_add_f64 v[86:87], v[116:117], v[86:87]
	v_mul_f64 v[116:117], v[136:137], s[0:1]
	v_add_f64 v[90:91], v[150:151], v[90:91]
	v_add_f64 v[106:107], v[106:107], v[110:111]
	v_mul_f64 v[110:111], v[136:137], s[38:39]
	v_mul_f64 v[150:151], v[63:64], s[10:11]
	v_add_f64 v[57:58], v[114:115], v[57:58]
	v_mul_f64 v[114:115], v[63:64], s[34:35]
	v_add_f64 v[118:119], v[122:123], v[118:119]
	v_add_f64 v[120:121], v[124:125], v[120:121]
	;; [unrolled: 1-line block ×5, first 2 shown]
	v_mul_f64 v[154:155], v[63:64], s[22:23]
	v_add_f64 v[94:95], v[126:127], v[94:95]
	v_mul_f64 v[126:127], v[63:64], s[48:49]
	v_mul_f64 v[63:64], v[63:64], s[16:17]
	v_add_f64 v[65:66], v[65:66], -v[74:75]
	v_add_f64 v[92:93], v[152:153], v[92:93]
	v_mul_f64 v[152:153], v[136:137], s[20:21]
	v_add_f64 v[140:141], v[156:157], v[140:141]
	v_mul_f64 v[156:157], v[136:137], s[40:41]
	;; [unrolled: 2-line block ×3, first 2 shown]
	v_mul_f64 v[136:137], v[136:137], s[12:13]
	v_fma_f64 v[122:123], v[59:60], s[26:27], v[170:171]
	v_fma_f64 v[170:171], v[59:60], s[26:27], -v[170:171]
	v_fma_f64 v[124:125], v[61:62], s[28:29], v[180:181]
	v_fma_f64 v[180:181], v[61:62], s[24:25], v[180:181]
	v_add_f64 v[144:145], v[168:169], v[144:145]
	v_fma_f64 v[168:169], v[59:60], s[52:53], v[88:89]
	v_add_f64 v[39:40], v[39:40], v[28:29]
	v_add_f64 v[37:38], v[37:38], v[26:27]
	v_fma_f64 v[158:159], v[61:62], s[54:55], v[84:85]
	v_fma_f64 v[88:89], v[59:60], s[52:53], -v[88:89]
	v_fma_f64 v[84:85], v[61:62], s[46:47], v[84:85]
	v_add_f64 v[100:101], v[160:161], v[100:101]
	v_add_f64 v[102:103], v[130:131], v[102:103]
	;; [unrolled: 1-line block ×6, first 2 shown]
	v_fma_f64 v[160:161], v[59:60], s[34:35], v[110:111]
	v_fma_f64 v[110:111], v[59:60], s[34:35], -v[110:111]
	v_fma_f64 v[134:135], v[61:62], s[0:1], v[150:151]
	v_add_f64 v[132:133], v[178:179], v[164:165]
	v_add_f64 v[41:42], v[162:163], v[41:42]
	v_fma_f64 v[174:175], v[61:62], s[36:37], v[166:167]
	v_fma_f64 v[166:167], v[61:62], s[44:45], v[166:167]
	v_add_f64 v[146:147], v[172:173], v[146:147]
	v_fma_f64 v[162:163], v[61:62], s[18:19], v[154:155]
	v_fma_f64 v[154:155], v[61:62], s[20:21], v[154:155]
	;; [unrolled: 1-line block ×4, first 2 shown]
	v_fma_f64 v[156:157], v[59:60], s[48:49], -v[156:157]
	v_fma_f64 v[172:173], v[59:60], s[42:43], v[128:129]
	v_fma_f64 v[128:129], v[59:60], s[42:43], -v[128:129]
	v_add_f64 v[49:50], v[122:123], v[55:56]
	v_fma_f64 v[122:123], v[59:60], s[10:11], v[116:117]
	v_add_f64 v[55:56], v[124:125], v[67:68]
	v_fma_f64 v[67:68], v[61:62], s[30:31], v[114:115]
	v_fma_f64 v[114:115], v[61:62], s[38:39], v[114:115]
	;; [unrolled: 1-line block ×3, first 2 shown]
	v_fma_f64 v[116:117], v[59:60], s[10:11], -v[116:117]
	v_add_f64 v[39:40], v[39:40], v[78:79]
	v_add_f64 v[37:38], v[37:38], v[30:31]
	;; [unrolled: 1-line block ×4, first 2 shown]
	v_fma_f64 v[170:171], v[61:62], s[50:51], v[126:127]
	v_fma_f64 v[126:127], v[61:62], s[40:41], v[126:127]
	;; [unrolled: 1-line block ×3, first 2 shown]
	v_add_f64 v[63:64], v[80:81], v[72:73]
	v_add_f64 v[80:81], v[80:81], -v[72:73]
	v_mul_f64 v[180:181], v[112:113], s[34:35]
	v_fma_f64 v[150:151], v[59:60], s[22:23], v[152:153]
	v_fma_f64 v[152:153], v[59:60], s[22:23], -v[152:153]
	v_fma_f64 v[176:177], v[59:60], s[16:17], v[136:137]
	v_fma_f64 v[59:60], v[59:60], s[16:17], -v[136:137]
	v_mul_f64 v[136:137], v[65:66], s[30:31]
	v_add_f64 v[69:70], v[168:169], v[69:70]
	v_add_f64 v[168:169], v[76:77], v[78:79]
	v_add_f64 v[76:77], v[76:77], -v[78:79]
	v_add_f64 v[82:83], v[158:159], v[82:83]
	v_mul_f64 v[158:159], v[65:66], s[50:51]
	v_add_f64 v[51:52], v[88:89], v[51:52]
	v_mul_f64 v[88:89], v[112:113], s[48:49]
	;; [unrolled: 2-line block ×3, first 2 shown]
	v_mul_f64 v[78:79], v[112:113], s[16:17]
	v_add_f64 v[106:107], v[160:161], v[106:107]
	v_mul_f64 v[160:161], v[65:66], s[20:21]
	v_add_f64 v[57:58], v[110:111], v[57:58]
	;; [unrolled: 2-line block ×4, first 2 shown]
	v_add_f64 v[118:119], v[122:123], v[118:119]
	v_mul_f64 v[122:123], v[65:66], s[28:29]
	v_add_f64 v[67:68], v[67:68], v[108:109]
	v_mul_f64 v[108:109], v[112:113], s[22:23]
	v_add_f64 v[86:87], v[114:115], v[86:87]
	v_mul_f64 v[114:115], v[112:113], s[52:53]
	v_add_f64 v[120:121], v[124:125], v[120:121]
	v_mul_f64 v[124:125], v[112:113], s[26:27]
	v_add_f64 v[90:91], v[116:117], v[90:91]
	v_mul_f64 v[116:117], v[65:66], s[8:9]
	v_mul_f64 v[65:66], v[65:66], s[36:37]
	v_mul_f64 v[112:113], v[112:113], s[42:43]
	v_add_f64 v[39:40], v[39:40], v[74:75]
	v_add_f64 v[37:38], v[37:38], v[72:73]
	;; [unrolled: 1-line block ×3, first 2 shown]
	v_fma_f64 v[162:163], v[80:81], s[38:39], v[180:181]
	v_add_f64 v[138:139], v[150:151], v[138:139]
	v_add_f64 v[94:95], v[152:153], v[94:95]
	;; [unrolled: 1-line block ×4, first 2 shown]
	v_fma_f64 v[150:151], v[63:64], s[34:35], v[136:137]
	v_fma_f64 v[136:137], v[63:64], s[34:35], -v[136:137]
	v_add_f64 v[98:99], v[156:157], v[98:99]
	v_add_f64 v[100:101], v[126:127], v[100:101]
	;; [unrolled: 1-line block ×8, first 2 shown]
	v_fma_f64 v[71:72], v[80:81], s[30:31], v[180:181]
	v_fma_f64 v[73:74], v[63:64], s[48:49], v[158:159]
	;; [unrolled: 1-line block ×3, first 2 shown]
	v_fma_f64 v[148:149], v[63:64], s[48:49], -v[158:159]
	v_fma_f64 v[88:89], v[80:81], s[50:51], v[88:89]
	v_fma_f64 v[152:153], v[63:64], s[16:17], v[84:85]
	;; [unrolled: 1-line block ×3, first 2 shown]
	v_fma_f64 v[84:85], v[63:64], s[16:17], -v[84:85]
	v_fma_f64 v[78:79], v[80:81], s[12:13], v[78:79]
	v_fma_f64 v[156:157], v[63:64], s[22:23], v[160:161]
	v_fma_f64 v[160:161], v[63:64], s[22:23], -v[160:161]
	v_fma_f64 v[158:159], v[80:81], s[18:19], v[108:109]
	v_fma_f64 v[108:109], v[80:81], s[20:21], v[108:109]
	;; [unrolled: 1-line block ×4, first 2 shown]
	v_fma_f64 v[110:111], v[63:64], s[52:53], -v[110:111]
	v_fma_f64 v[114:115], v[80:81], s[46:47], v[114:115]
	v_fma_f64 v[170:171], v[63:64], s[26:27], v[122:123]
	v_fma_f64 v[172:173], v[80:81], s[24:25], v[124:125]
	v_fma_f64 v[122:123], v[63:64], s[26:27], -v[122:123]
	v_fma_f64 v[124:125], v[80:81], s[28:29], v[124:125]
	v_fma_f64 v[174:175], v[63:64], s[10:11], v[116:117]
	v_fma_f64 v[176:177], v[80:81], s[0:1], v[134:135]
	;; [unrolled: 4-line block ×3, first 2 shown]
	v_fma_f64 v[63:64], v[63:64], s[42:43], -v[65:66]
	v_fma_f64 v[65:66], v[80:81], s[36:37], v[112:113]
	v_add_f64 v[80:81], v[22:23], v[30:31]
	v_add_f64 v[22:23], v[22:23], -v[30:31]
	v_add_f64 v[30:31], v[20:21], v[26:27]
	v_add_f64 v[20:21], v[20:21], -v[26:27]
	v_mul_f64 v[26:27], v[168:169], s[42:43]
	v_add_f64 v[32:33], v[39:40], v[32:33]
	v_add_f64 v[112:113], v[24:25], -v[28:29]
	v_add_f64 v[24:25], v[24:25], v[28:29]
	v_mul_f64 v[28:29], v[76:77], s[36:37]
	v_add_f64 v[34:35], v[37:38], v[34:35]
	v_mul_f64 v[37:38], v[76:77], s[38:39]
	v_mul_f64 v[39:40], v[168:169], s[34:35]
	v_add_f64 v[41:42], v[59:60], v[41:42]
	v_mul_f64 v[59:60], v[76:77], s[8:9]
	v_add_f64 v[43:44], v[61:62], v[43:44]
	v_mul_f64 v[61:62], v[168:169], s[10:11]
	v_add_f64 v[55:56], v[162:163], v[55:56]
	v_mul_f64 v[162:163], v[168:169], s[48:49]
	v_add_f64 v[49:50], v[150:151], v[49:50]
	v_mul_f64 v[150:151], v[76:77], s[40:41]
	v_add_f64 v[45:46], v[136:137], v[45:46]
	v_mul_f64 v[136:137], v[76:77], s[28:29]
	v_add_f64 v[47:48], v[71:72], v[47:48]
	v_mul_f64 v[71:72], v[168:169], s[26:27]
	v_add_f64 v[69:70], v[73:74], v[69:70]
	v_mul_f64 v[73:74], v[76:77], s[14:15]
	v_add_f64 v[51:52], v[148:149], v[51:52]
	v_mul_f64 v[148:149], v[76:77], s[46:47]
	v_mul_f64 v[75:76], v[76:77], s[18:19]
	v_add_f64 v[77:78], v[78:79], v[86:87]
	v_add_f64 v[82:83], v[132:133], v[82:83]
	v_mul_f64 v[132:133], v[168:169], s[16:17]
	v_add_f64 v[53:54], v[88:89], v[53:54]
	v_add_f64 v[106:107], v[152:153], v[106:107]
	;; [unrolled: 1-line block ×4, first 2 shown]
	v_mul_f64 v[88:89], v[168:169], s[52:53]
	v_mul_f64 v[168:169], v[168:169], s[22:23]
	v_add_f64 v[120:121], v[158:159], v[120:121]
	v_add_f64 v[92:93], v[108:109], v[92:93]
	;; [unrolled: 1-line block ×4, first 2 shown]
	v_fma_f64 v[86:87], v[22:23], s[44:45], v[26:27]
	v_fma_f64 v[26:27], v[22:23], s[36:37], v[26:27]
	v_add_f64 v[16:17], v[32:33], v[16:17]
	v_mul_f64 v[154:155], v[24:25], s[48:49]
	v_fma_f64 v[84:85], v[80:81], s[42:43], v[28:29]
	v_fma_f64 v[28:29], v[80:81], s[42:43], -v[28:29]
	v_add_f64 v[18:19], v[34:35], v[18:19]
	v_fma_f64 v[34:35], v[80:81], s[34:35], v[37:38]
	v_fma_f64 v[32:33], v[22:23], s[30:31], v[39:40]
	v_fma_f64 v[37:38], v[80:81], s[34:35], -v[37:38]
	v_fma_f64 v[39:40], v[22:23], s[38:39], v[39:40]
	v_fma_f64 v[156:157], v[80:81], s[10:11], v[59:60]
	;; [unrolled: 1-line block ×3, first 2 shown]
	v_fma_f64 v[59:60], v[80:81], s[10:11], -v[59:60]
	v_fma_f64 v[61:62], v[22:23], s[8:9], v[61:62]
	v_fma_f64 v[108:109], v[22:23], s[50:51], v[162:163]
	v_mul_f64 v[152:153], v[112:113], s[40:41]
	v_add_f64 v[90:91], v[160:161], v[90:91]
	v_fma_f64 v[160:161], v[80:81], s[48:49], v[150:151]
	v_fma_f64 v[166:167], v[22:23], s[24:25], v[71:72]
	v_add_f64 v[138:139], v[164:165], v[138:139]
	v_fma_f64 v[164:165], v[80:81], s[26:27], v[136:137]
	v_add_f64 v[94:95], v[110:111], v[94:95]
	v_add_f64 v[96:97], v[114:115], v[96:97]
	;; [unrolled: 1-line block ×10, first 2 shown]
	v_mul_f64 v[63:64], v[112:113], s[24:25]
	v_mul_f64 v[65:66], v[24:25], s[26:27]
	v_fma_f64 v[162:163], v[22:23], s[40:41], v[162:163]
	v_add_f64 v[122:123], v[174:175], v[126:127]
	v_add_f64 v[126:127], v[180:181], v[130:131]
	v_mul_f64 v[130:131], v[112:113], s[44:45]
	v_add_f64 v[55:56], v[86:87], v[55:56]
	v_fma_f64 v[86:87], v[80:81], s[52:53], -v[148:149]
	v_add_f64 v[12:13], v[16:17], v[12:13]
	v_add_f64 v[16:17], v[26:27], v[47:48]
	v_mul_f64 v[26:27], v[24:25], s[22:23]
	v_add_f64 v[28:29], v[28:29], v[45:46]
	v_add_f64 v[14:15], v[18:19], v[14:15]
	v_mul_f64 v[18:19], v[112:113], s[18:19]
	v_fma_f64 v[45:46], v[80:81], s[26:27], -v[136:137]
	v_add_f64 v[34:35], v[34:35], v[69:70]
	v_fma_f64 v[47:48], v[22:23], s[28:29], v[71:72]
	v_add_f64 v[37:38], v[37:38], v[51:52]
	v_add_f64 v[39:40], v[39:40], v[53:54]
	v_fma_f64 v[51:52], v[80:81], s[16:17], v[73:74]
	v_fma_f64 v[53:54], v[22:23], s[12:13], v[132:133]
	v_add_f64 v[69:70], v[156:157], v[106:107]
	v_fma_f64 v[71:72], v[80:81], s[16:17], -v[73:74]
	v_fma_f64 v[73:74], v[22:23], s[14:15], v[132:133]
	v_fma_f64 v[106:107], v[80:81], s[22:23], v[75:76]
	v_add_f64 v[49:50], v[84:85], v[49:50]
	v_add_f64 v[57:58], v[59:60], v[57:58]
	;; [unrolled: 1-line block ×3, first 2 shown]
	v_fma_f64 v[77:78], v[22:23], s[54:55], v[88:89]
	v_add_f64 v[84:85], v[108:109], v[120:121]
	v_fma_f64 v[88:89], v[22:23], s[46:47], v[88:89]
	v_fma_f64 v[108:109], v[22:23], s[20:21], v[168:169]
	;; [unrolled: 1-line block ×3, first 2 shown]
	v_add_f64 v[104:105], v[134:135], v[104:105]
	v_fma_f64 v[134:135], v[20:21], s[40:41], v[154:155]
	v_mul_f64 v[136:137], v[24:25], s[42:43]
	v_fma_f64 v[150:151], v[80:81], s[48:49], -v[150:151]
	v_fma_f64 v[75:76], v[80:81], s[22:23], -v[75:76]
	v_fma_f64 v[61:62], v[80:81], s[52:53], v[148:149]
	v_add_f64 v[79:80], v[166:167], v[140:141]
	v_add_f64 v[124:125], v[176:177], v[146:147]
	;; [unrolled: 1-line block ×6, first 2 shown]
	v_fma_f64 v[120:121], v[30:31], s[48:49], v[152:153]
	v_fma_f64 v[128:129], v[20:21], s[50:51], v[154:155]
	v_mul_f64 v[142:143], v[112:113], s[8:9]
	v_fma_f64 v[140:141], v[20:21], s[20:21], v[26:27]
	v_fma_f64 v[26:27], v[20:21], s[18:19], v[26:27]
	v_mul_f64 v[144:145], v[24:25], s[10:11]
	v_fma_f64 v[138:139], v[30:31], s[22:23], v[18:19]
	v_add_f64 v[45:46], v[45:46], v[94:95]
	v_fma_f64 v[18:19], v[30:31], s[22:23], -v[18:19]
	v_add_f64 v[47:48], v[47:48], v[96:97]
	v_fma_f64 v[94:95], v[30:31], s[26:27], v[63:64]
	v_fma_f64 v[96:97], v[20:21], s[28:29], v[65:66]
	v_add_f64 v[51:52], v[51:52], v[110:111]
	v_add_f64 v[53:54], v[53:54], v[114:115]
	v_mul_f64 v[110:111], v[112:113], s[46:47]
	v_mul_f64 v[114:115], v[24:25], s[52:53]
	v_add_f64 v[71:72], v[71:72], v[98:99]
	v_add_f64 v[73:74], v[73:74], v[100:101]
	v_mul_f64 v[98:99], v[112:113], s[12:13]
	v_mul_f64 v[100:101], v[24:25], s[16:17]
	;; [unrolled: 1-line block ×4, first 2 shown]
	v_add_f64 v[86:87], v[86:87], v[102:103]
	v_add_f64 v[102:103], v[106:107], v[116:117]
	v_add_f64 v[106:107], v[8:9], -v[10:11]
	v_add_f64 v[8:9], v[8:9], v[10:11]
	v_fma_f64 v[10:11], v[30:31], s[26:27], -v[63:64]
	v_fma_f64 v[132:133], v[30:31], s[48:49], -v[152:153]
	v_add_f64 v[22:23], v[22:23], v[43:44]
	v_fma_f64 v[43:44], v[20:21], s[24:25], v[65:66]
	v_fma_f64 v[63:64], v[30:31], s[42:43], v[130:131]
	v_add_f64 v[65:66], v[134:135], v[16:17]
	v_fma_f64 v[16:17], v[20:21], s[36:37], v[136:137]
	v_add_f64 v[90:91], v[150:151], v[90:91]
	v_add_f64 v[41:42], v[75:76], v[41:42]
	v_fma_f64 v[75:76], v[30:31], s[42:43], -v[130:131]
	v_add_f64 v[92:93], v[162:163], v[92:93]
	v_add_f64 v[88:89], v[88:89], v[104:105]
	;; [unrolled: 1-line block ×7, first 2 shown]
	v_fma_f64 v[26:27], v[20:21], s[44:45], v[136:137]
	v_add_f64 v[55:56], v[128:129], v[55:56]
	v_add_f64 v[34:35], v[138:139], v[34:35]
	;; [unrolled: 1-line block ×6, first 2 shown]
	v_fma_f64 v[67:68], v[30:31], s[10:11], v[142:143]
	v_fma_f64 v[69:70], v[20:21], s[0:1], v[144:145]
	v_fma_f64 v[94:95], v[30:31], s[10:11], -v[142:143]
	v_fma_f64 v[96:97], v[20:21], s[8:9], v[144:145]
	v_fma_f64 v[116:117], v[30:31], s[52:53], v[110:111]
	v_fma_f64 v[120:121], v[20:21], s[54:55], v[114:115]
	v_fma_f64 v[110:111], v[30:31], s[52:53], -v[110:111]
	v_fma_f64 v[114:115], v[20:21], s[46:47], v[114:115]
	;; [unrolled: 4-line block ×4, first 2 shown]
	v_add_f64 v[24:25], v[4:5], v[6:7]
	v_add_f64 v[4:5], v[4:5], -v[6:7]
	v_mul_f64 v[6:7], v[106:107], s[46:47]
	v_mul_f64 v[112:113], v[8:9], s[52:53]
	v_add_f64 v[57:58], v[10:11], v[57:58]
	v_mul_f64 v[10:11], v[106:107], s[0:1]
	v_mul_f64 v[130:131], v[8:9], s[10:11]
	v_add_f64 v[28:29], v[132:133], v[28:29]
	v_add_f64 v[59:60], v[43:44], v[59:60]
	v_mul_f64 v[43:44], v[106:107], s[40:41]
	v_mul_f64 v[132:133], v[8:9], s[48:49]
	v_add_f64 v[63:64], v[63:64], v[82:83]
	v_mul_f64 v[81:82], v[106:107], s[12:13]
	v_mul_f64 v[134:135], v[8:9], s[16:17]
	;; [unrolled: 3-line block ×5, first 2 shown]
	v_mul_f64 v[106:107], v[106:107], s[28:29]
	v_mul_f64 v[8:9], v[8:9], s[26:27]
	v_add_f64 v[69:70], v[69:70], v[79:80]
	v_add_f64 v[45:46], v[94:95], v[45:46]
	;; [unrolled: 1-line block ×15, first 2 shown]
	v_fma_f64 v[22:23], v[24:25], s[52:53], v[6:7]
	v_fma_f64 v[30:31], v[4:5], s[54:55], v[112:113]
	v_fma_f64 v[41:42], v[24:25], s[52:53], -v[6:7]
	v_fma_f64 v[71:72], v[24:25], s[10:11], v[10:11]
	v_fma_f64 v[73:74], v[4:5], s[8:9], v[130:131]
	v_add_f64 v[61:62], v[122:123], v[61:62]
	v_fma_f64 v[77:78], v[24:25], s[10:11], -v[10:11]
	v_fma_f64 v[104:105], v[24:25], s[48:49], v[43:44]
	v_fma_f64 v[110:111], v[4:5], s[50:51], v[132:133]
	v_fma_f64 v[43:44], v[24:25], s[48:49], -v[43:44]
	v_fma_f64 v[114:115], v[24:25], s[16:17], v[81:82]
	v_fma_f64 v[116:117], v[4:5], s[14:15], v[134:135]
	;; [unrolled: 3-line block ×7, first 2 shown]
	v_fma_f64 v[138:139], v[4:5], s[18:19], v[138:139]
	v_fma_f64 v[136:137], v[4:5], s[36:37], v[136:137]
	;; [unrolled: 1-line block ×6, first 2 shown]
	v_add_f64 v[2:3], v[14:15], v[2:3]
	v_add_f64 v[4:5], v[12:13], v[0:1]
	s_mov_b32 s0, 0xda71079e
	s_mov_b32 s1, 0x3f46ad43
	v_add_f64 v[6:7], v[22:23], v[49:50]
	v_add_f64 v[8:9], v[30:31], v[55:56]
	;; [unrolled: 1-line block ×32, first 2 shown]
	ds_store_b128 v36, v[2:5]
	ds_store_b128 v36, v[6:9] offset:1360
	ds_store_b128 v36, v[14:17] offset:2720
	;; [unrolled: 1-line block ×16, first 2 shown]
	s_waitcnt lgkmcnt(0)
	s_barrier
	buffer_gl0_inv
	ds_load_b128 v[0:3], v36
	ds_load_b128 v[4:7], v36 offset:1360
	s_clause 0x2
	scratch_load_b128 v[22:25], off, off offset:140
	scratch_load_b128 v[52:55], off, off offset:124
	;; [unrolled: 1-line block ×3, first 2 shown]
	ds_load_b128 v[8:11], v36 offset:2720
	s_waitcnt vmcnt(2) lgkmcnt(2)
	v_mul_f64 v[12:13], v[24:25], v[2:3]
	v_mul_f64 v[14:15], v[24:25], v[0:1]
	s_waitcnt vmcnt(0) lgkmcnt(1)
	v_mul_f64 v[16:17], v[28:29], v[6:7]
	v_mul_f64 v[18:19], v[28:29], v[4:5]
	s_delay_alu instid0(VALU_DEP_4) | instskip(NEXT) | instid1(VALU_DEP_4)
	v_fma_f64 v[20:21], v[22:23], v[0:1], v[12:13]
	v_fma_f64 v[22:23], v[22:23], v[2:3], -v[14:15]
	ds_load_b128 v[0:3], v36 offset:4080
	v_fma_f64 v[24:25], v[26:27], v[4:5], v[16:17]
	v_fma_f64 v[26:27], v[26:27], v[6:7], -v[18:19]
	s_waitcnt lgkmcnt(1)
	v_mul_f64 v[28:29], v[54:55], v[10:11]
	v_mul_f64 v[30:31], v[54:55], v[8:9]
	ds_load_b128 v[4:7], v36 offset:5440
	ds_load_b128 v[12:15], v36 offset:6800
	s_clause 0x2
	scratch_load_b128 v[54:57], off, off offset:204
	scratch_load_b64 v[16:17], off, off offset:64
	scratch_load_b32 v51, off, off offset:72
	s_waitcnt vmcnt(2) lgkmcnt(2)
	v_mul_f64 v[37:38], v[56:57], v[2:3]
	v_mul_f64 v[39:40], v[56:57], v[0:1]
	scratch_load_b128 v[56:59], off, off offset:220 ; 16-byte Folded Reload
	s_waitcnt vmcnt(2)
	v_mov_b32_e32 v19, v16
	s_waitcnt vmcnt(1)
	v_mad_u64_u32 v[34:35], null, s4, v51, 0
	s_delay_alu instid0(VALU_DEP_2) | instskip(NEXT) | instid1(VALU_DEP_1)
	v_mad_u64_u32 v[32:33], null, s6, v19, 0
	v_mov_b32_e32 v16, v33
	s_delay_alu instid0(VALU_DEP_1) | instskip(NEXT) | instid1(VALU_DEP_4)
	v_mad_u64_u32 v[17:18], null, s7, v19, v[16:17]
	v_mov_b32_e32 v16, v35
	v_mul_f64 v[18:19], v[22:23], s[0:1]
	v_mul_f64 v[22:23], v[26:27], s[0:1]
	v_fma_f64 v[26:27], v[52:53], v[10:11], -v[30:31]
	v_mov_b32_e32 v33, v17
	v_mad_u64_u32 v[49:50], null, s5, v51, v[16:17]
	v_mul_f64 v[16:17], v[20:21], s[0:1]
	v_mul_f64 v[20:21], v[24:25], s[0:1]
	v_fma_f64 v[24:25], v[52:53], v[8:9], v[28:29]
	v_lshlrev_b64 v[8:9], 4, v[32:33]
	v_mov_b32_e32 v35, v49
	v_fma_f64 v[49:50], v[54:55], v[0:1], v[37:38]
	v_fma_f64 v[51:52], v[54:55], v[2:3], -v[39:40]
	s_delay_alu instid0(VALU_DEP_4) | instskip(NEXT) | instid1(VALU_DEP_4)
	v_add_co_u32 v8, vcc_lo, s2, v8
	v_lshlrev_b64 v[10:11], 4, v[34:35]
	v_add_co_ci_u32_e32 v9, vcc_lo, s3, v9, vcc_lo
	s_mul_i32 s2, s5, 0x550
	s_mul_hi_u32 s3, s4, 0x550
	ds_load_b128 v[0:3], v36 offset:8160
	v_add_co_u32 v28, vcc_lo, v8, v10
	v_add_co_ci_u32_e32 v29, vcc_lo, v9, v11, vcc_lo
	ds_load_b128 v[8:11], v36 offset:9520
	s_add_i32 s2, s3, s2
	s_mul_i32 s3, s4, 0x550
	s_delay_alu instid0(SALU_CYCLE_1) | instskip(SKIP_1) | instid1(VALU_DEP_2)
	v_add_co_u32 v32, vcc_lo, v28, s3
	v_add_co_ci_u32_e32 v33, vcc_lo, s2, v29, vcc_lo
	v_add_co_u32 v82, vcc_lo, v32, s3
	s_delay_alu instid0(VALU_DEP_2)
	v_add_co_ci_u32_e32 v83, vcc_lo, s2, v33, vcc_lo
	s_waitcnt vmcnt(0) lgkmcnt(3)
	v_mul_f64 v[41:42], v[58:59], v[6:7]
	v_mul_f64 v[43:44], v[58:59], v[4:5]
	scratch_load_b128 v[59:62], off, off offset:236 ; 16-byte Folded Reload
	v_fma_f64 v[53:54], v[56:57], v[4:5], v[41:42]
	v_fma_f64 v[55:56], v[56:57], v[6:7], -v[43:44]
	ds_load_b128 v[4:7], v36 offset:10880
	s_clause 0x1
	global_store_b128 v[28:29], v[16:19], off
	global_store_b128 v[32:33], v[20:23], off
	scratch_load_b128 v[108:111], off, off offset:48 ; 16-byte Folded Reload
	ds_load_b128 v[16:19], v36 offset:12240
	ds_load_b128 v[20:23], v36 offset:13600
	v_mul_f64 v[72:73], v[53:54], s[0:1]
	v_mul_f64 v[74:75], v[55:56], s[0:1]
	s_waitcnt vmcnt(1) lgkmcnt(5)
	v_mul_f64 v[45:46], v[61:62], v[14:15]
	v_mul_f64 v[47:48], v[61:62], v[12:13]
	s_delay_alu instid0(VALU_DEP_2) | instskip(NEXT) | instid1(VALU_DEP_2)
	v_fma_f64 v[57:58], v[59:60], v[12:13], v[45:46]
	v_fma_f64 v[59:60], v[59:60], v[14:15], -v[47:48]
	s_waitcnt vmcnt(0) lgkmcnt(4)
	v_mul_f64 v[61:62], v[110:111], v[2:3]
	v_mul_f64 v[63:64], v[110:111], v[0:1]
	scratch_load_b128 v[110:113], off, off offset:76 ; 16-byte Folded Reload
	v_mul_f64 v[12:13], v[24:25], s[0:1]
	v_mul_f64 v[14:15], v[26:27], s[0:1]
	ds_load_b128 v[24:27], v36 offset:14960
	ds_load_b128 v[28:31], v36 offset:16320
	v_mul_f64 v[45:46], v[49:50], s[0:1]
	v_mul_f64 v[47:48], v[51:52], s[0:1]
	ds_load_b128 v[32:35], v36 offset:17680
	ds_load_b128 v[37:40], v36 offset:19040
	;; [unrolled: 1-line block ×4, first 2 shown]
	v_mul_f64 v[76:77], v[57:58], s[0:1]
	v_mul_f64 v[78:79], v[59:60], s[0:1]
	v_fma_f64 v[0:1], v[108:109], v[0:1], v[61:62]
	v_fma_f64 v[2:3], v[108:109], v[2:3], -v[63:64]
	v_add_co_u32 v61, vcc_lo, v82, s3
	v_add_co_ci_u32_e32 v62, vcc_lo, s2, v83, vcc_lo
	s_delay_alu instid0(VALU_DEP_2) | instskip(NEXT) | instid1(VALU_DEP_2)
	v_add_co_u32 v63, vcc_lo, v61, s3
	v_add_co_ci_u32_e32 v64, vcc_lo, s2, v62, vcc_lo
	v_mul_f64 v[0:1], v[0:1], s[0:1]
	v_mul_f64 v[2:3], v[2:3], s[0:1]
	s_waitcnt vmcnt(0) lgkmcnt(9)
	v_mul_f64 v[65:66], v[112:113], v[10:11]
	v_mul_f64 v[80:81], v[112:113], v[8:9]
	scratch_load_b128 v[112:115], off, off offset:92 ; 16-byte Folded Reload
	v_fma_f64 v[8:9], v[110:111], v[8:9], v[65:66]
	v_fma_f64 v[10:11], v[110:111], v[10:11], -v[80:81]
	s_waitcnt vmcnt(0) lgkmcnt(8)
	v_mul_f64 v[84:85], v[114:115], v[6:7]
	v_mul_f64 v[86:87], v[114:115], v[4:5]
	scratch_load_b128 v[114:117], off, off offset:108 ; 16-byte Folded Reload
	v_fma_f64 v[65:66], v[112:113], v[4:5], v[84:85]
	v_fma_f64 v[80:81], v[112:113], v[6:7], -v[86:87]
	v_add_co_u32 v4, vcc_lo, v63, s3
	v_add_co_ci_u32_e32 v5, vcc_lo, s2, v64, vcc_lo
	v_mul_f64 v[6:7], v[10:11], s[0:1]
	s_delay_alu instid0(VALU_DEP_4)
	v_mul_f64 v[10:11], v[80:81], s[0:1]
	s_waitcnt vmcnt(0) lgkmcnt(7)
	v_mul_f64 v[49:50], v[116:117], v[18:19]
	v_mul_f64 v[51:52], v[116:117], v[16:17]
	scratch_load_b128 v[116:119], off, off offset:156 ; 16-byte Folded Reload
	v_fma_f64 v[16:17], v[114:115], v[16:17], v[49:50]
	v_fma_f64 v[18:19], v[114:115], v[18:19], -v[51:52]
	s_waitcnt vmcnt(0) lgkmcnt(6)
	v_mul_f64 v[88:89], v[118:119], v[22:23]
	v_mul_f64 v[90:91], v[118:119], v[20:21]
	scratch_load_b128 v[118:121], off, off offset:172 ; 16-byte Folded Reload
	v_fma_f64 v[20:21], v[116:117], v[20:21], v[88:89]
	v_fma_f64 v[22:23], v[116:117], v[22:23], -v[90:91]
	;; [unrolled: 6-line block ×6, first 2 shown]
	s_waitcnt vmcnt(0) lgkmcnt(1)
	v_mul_f64 v[100:101], v[128:129], v[43:44]
	v_mul_f64 v[102:103], v[128:129], v[41:42]
	scratch_load_b128 v[128:131], off, off offset:316 ; 16-byte Folded Reload
	s_clause 0x2
	global_store_b128 v[82:83], v[12:15], off
	global_store_b128 v[61:62], v[45:48], off
	global_store_b128 v[63:64], v[72:75], off
	global_store_b128 v[4:5], v[76:79], off
	v_add_co_u32 v48, vcc_lo, v4, s3
	v_add_co_ci_u32_e32 v49, vcc_lo, s2, v5, vcc_lo
	v_mul_f64 v[4:5], v[8:9], s[0:1]
	s_delay_alu instid0(VALU_DEP_3) | instskip(NEXT) | instid1(VALU_DEP_3)
	v_add_co_u32 v50, vcc_lo, v48, s3
	v_add_co_ci_u32_e32 v51, vcc_lo, s2, v49, vcc_lo
	v_mul_f64 v[8:9], v[65:66], s[0:1]
	s_delay_alu instid0(VALU_DEP_3) | instskip(NEXT) | instid1(VALU_DEP_3)
	v_add_co_u32 v52, vcc_lo, v50, s3
	v_add_co_ci_u32_e32 v53, vcc_lo, s2, v51, vcc_lo
	v_mul_f64 v[12:13], v[16:17], s[0:1]
	v_mul_f64 v[14:15], v[18:19], s[0:1]
	v_mul_f64 v[16:17], v[20:21], s[0:1]
	v_mul_f64 v[18:19], v[22:23], s[0:1]
	v_mul_f64 v[20:21], v[24:25], s[0:1]
	v_mul_f64 v[22:23], v[26:27], s[0:1]
	v_add_co_u32 v54, vcc_lo, v52, s3
	v_mul_f64 v[24:25], v[28:29], s[0:1]
	v_mul_f64 v[26:27], v[30:31], s[0:1]
	;; [unrolled: 1-line block ×4, first 2 shown]
	v_add_co_ci_u32_e32 v55, vcc_lo, s2, v53, vcc_lo
	v_mul_f64 v[32:33], v[36:37], s[0:1]
	v_mul_f64 v[34:35], v[38:39], s[0:1]
	global_store_b128 v[48:49], v[0:3], off
	v_fma_f64 v[40:41], v[126:127], v[41:42], v[100:101]
	v_fma_f64 v[42:43], v[126:127], v[43:44], -v[102:103]
	global_store_b128 v[50:51], v[4:7], off
	global_store_b128 v[52:53], v[8:11], off
	;; [unrolled: 1-line block ×3, first 2 shown]
	v_mul_f64 v[36:37], v[40:41], s[0:1]
	v_mul_f64 v[38:39], v[42:43], s[0:1]
	s_waitcnt vmcnt(0) lgkmcnt(0)
	v_mul_f64 v[104:105], v[130:131], v[70:71]
	v_mul_f64 v[106:107], v[130:131], v[68:69]
	s_delay_alu instid0(VALU_DEP_2) | instskip(NEXT) | instid1(VALU_DEP_2)
	v_fma_f64 v[44:45], v[128:129], v[68:69], v[104:105]
	v_fma_f64 v[46:47], v[128:129], v[70:71], -v[106:107]
	s_delay_alu instid0(VALU_DEP_2) | instskip(NEXT) | instid1(VALU_DEP_2)
	v_mul_f64 v[40:41], v[44:45], s[0:1]
	v_mul_f64 v[42:43], v[46:47], s[0:1]
	v_add_co_u32 v44, vcc_lo, v54, s3
	v_add_co_ci_u32_e32 v45, vcc_lo, s2, v55, vcc_lo
	s_delay_alu instid0(VALU_DEP_2) | instskip(NEXT) | instid1(VALU_DEP_2)
	v_add_co_u32 v0, vcc_lo, v44, s3
	v_add_co_ci_u32_e32 v1, vcc_lo, s2, v45, vcc_lo
	global_store_b128 v[44:45], v[16:19], off
	v_add_co_u32 v2, vcc_lo, v0, s3
	v_add_co_ci_u32_e32 v3, vcc_lo, s2, v1, vcc_lo
	global_store_b128 v[0:1], v[20:23], off
	v_add_co_u32 v4, vcc_lo, v2, s3
	v_add_co_ci_u32_e32 v5, vcc_lo, s2, v3, vcc_lo
	s_delay_alu instid0(VALU_DEP_2) | instskip(NEXT) | instid1(VALU_DEP_2)
	v_add_co_u32 v6, vcc_lo, v4, s3
	v_add_co_ci_u32_e32 v7, vcc_lo, s2, v5, vcc_lo
	s_delay_alu instid0(VALU_DEP_2) | instskip(NEXT) | instid1(VALU_DEP_2)
	;; [unrolled: 3-line block ×3, first 2 shown]
	v_add_co_u32 v0, vcc_lo, v8, s3
	v_add_co_ci_u32_e32 v1, vcc_lo, s2, v9, vcc_lo
	global_store_b128 v[2:3], v[24:27], off
	global_store_b128 v[4:5], v[28:31], off
	;; [unrolled: 1-line block ×5, first 2 shown]
.LBB0_10:
	s_nop 0
	s_sendmsg sendmsg(MSG_DEALLOC_VGPRS)
	s_endpgm
	.section	.rodata,"a",@progbits
	.p2align	6, 0x0
	.amdhsa_kernel bluestein_single_back_len1445_dim1_dp_op_CI_CI
		.amdhsa_group_segment_fixed_size 23120
		.amdhsa_private_segment_fixed_size 436
		.amdhsa_kernarg_size 104
		.amdhsa_user_sgpr_count 15
		.amdhsa_user_sgpr_dispatch_ptr 0
		.amdhsa_user_sgpr_queue_ptr 0
		.amdhsa_user_sgpr_kernarg_segment_ptr 1
		.amdhsa_user_sgpr_dispatch_id 0
		.amdhsa_user_sgpr_private_segment_size 0
		.amdhsa_wavefront_size32 1
		.amdhsa_uses_dynamic_stack 0
		.amdhsa_enable_private_segment 1
		.amdhsa_system_sgpr_workgroup_id_x 1
		.amdhsa_system_sgpr_workgroup_id_y 0
		.amdhsa_system_sgpr_workgroup_id_z 0
		.amdhsa_system_sgpr_workgroup_info 0
		.amdhsa_system_vgpr_workitem_id 0
		.amdhsa_next_free_vgpr 256
		.amdhsa_next_free_sgpr 58
		.amdhsa_reserve_vcc 1
		.amdhsa_float_round_mode_32 0
		.amdhsa_float_round_mode_16_64 0
		.amdhsa_float_denorm_mode_32 3
		.amdhsa_float_denorm_mode_16_64 3
		.amdhsa_dx10_clamp 1
		.amdhsa_ieee_mode 1
		.amdhsa_fp16_overflow 0
		.amdhsa_workgroup_processor_mode 1
		.amdhsa_memory_ordered 1
		.amdhsa_forward_progress 0
		.amdhsa_shared_vgpr_count 0
		.amdhsa_exception_fp_ieee_invalid_op 0
		.amdhsa_exception_fp_denorm_src 0
		.amdhsa_exception_fp_ieee_div_zero 0
		.amdhsa_exception_fp_ieee_overflow 0
		.amdhsa_exception_fp_ieee_underflow 0
		.amdhsa_exception_fp_ieee_inexact 0
		.amdhsa_exception_int_div_zero 0
	.end_amdhsa_kernel
	.text
.Lfunc_end0:
	.size	bluestein_single_back_len1445_dim1_dp_op_CI_CI, .Lfunc_end0-bluestein_single_back_len1445_dim1_dp_op_CI_CI
                                        ; -- End function
	.section	.AMDGPU.csdata,"",@progbits
; Kernel info:
; codeLenInByte = 39576
; NumSgprs: 60
; NumVgprs: 256
; ScratchSize: 436
; MemoryBound: 0
; FloatMode: 240
; IeeeMode: 1
; LDSByteSize: 23120 bytes/workgroup (compile time only)
; SGPRBlocks: 7
; VGPRBlocks: 31
; NumSGPRsForWavesPerEU: 60
; NumVGPRsForWavesPerEU: 256
; Occupancy: 4
; WaveLimiterHint : 1
; COMPUTE_PGM_RSRC2:SCRATCH_EN: 1
; COMPUTE_PGM_RSRC2:USER_SGPR: 15
; COMPUTE_PGM_RSRC2:TRAP_HANDLER: 0
; COMPUTE_PGM_RSRC2:TGID_X_EN: 1
; COMPUTE_PGM_RSRC2:TGID_Y_EN: 0
; COMPUTE_PGM_RSRC2:TGID_Z_EN: 0
; COMPUTE_PGM_RSRC2:TIDIG_COMP_CNT: 0
	.text
	.p2alignl 7, 3214868480
	.fill 96, 4, 3214868480
	.type	__hip_cuid_13e744138206c579,@object ; @__hip_cuid_13e744138206c579
	.section	.bss,"aw",@nobits
	.globl	__hip_cuid_13e744138206c579
__hip_cuid_13e744138206c579:
	.byte	0                               ; 0x0
	.size	__hip_cuid_13e744138206c579, 1

	.ident	"AMD clang version 19.0.0git (https://github.com/RadeonOpenCompute/llvm-project roc-6.4.0 25133 c7fe45cf4b819c5991fe208aaa96edf142730f1d)"
	.section	".note.GNU-stack","",@progbits
	.addrsig
	.addrsig_sym __hip_cuid_13e744138206c579
	.amdgpu_metadata
---
amdhsa.kernels:
  - .args:
      - .actual_access:  read_only
        .address_space:  global
        .offset:         0
        .size:           8
        .value_kind:     global_buffer
      - .actual_access:  read_only
        .address_space:  global
        .offset:         8
        .size:           8
        .value_kind:     global_buffer
      - .actual_access:  read_only
        .address_space:  global
        .offset:         16
        .size:           8
        .value_kind:     global_buffer
      - .actual_access:  read_only
        .address_space:  global
        .offset:         24
        .size:           8
        .value_kind:     global_buffer
      - .actual_access:  read_only
        .address_space:  global
        .offset:         32
        .size:           8
        .value_kind:     global_buffer
      - .offset:         40
        .size:           8
        .value_kind:     by_value
      - .address_space:  global
        .offset:         48
        .size:           8
        .value_kind:     global_buffer
      - .address_space:  global
        .offset:         56
        .size:           8
        .value_kind:     global_buffer
      - .address_space:  global
        .offset:         64
        .size:           8
        .value_kind:     global_buffer
      - .address_space:  global
        .offset:         72
        .size:           8
        .value_kind:     global_buffer
      - .offset:         80
        .size:           4
        .value_kind:     by_value
      - .address_space:  global
        .offset:         88
        .size:           8
        .value_kind:     global_buffer
      - .address_space:  global
        .offset:         96
        .size:           8
        .value_kind:     global_buffer
    .group_segment_fixed_size: 23120
    .kernarg_segment_align: 8
    .kernarg_segment_size: 104
    .language:       OpenCL C
    .language_version:
      - 2
      - 0
    .max_flat_workgroup_size: 85
    .name:           bluestein_single_back_len1445_dim1_dp_op_CI_CI
    .private_segment_fixed_size: 436
    .sgpr_count:     60
    .sgpr_spill_count: 0
    .symbol:         bluestein_single_back_len1445_dim1_dp_op_CI_CI.kd
    .uniform_work_group_size: 1
    .uses_dynamic_stack: false
    .vgpr_count:     256
    .vgpr_spill_count: 120
    .wavefront_size: 32
    .workgroup_processor_mode: 1
amdhsa.target:   amdgcn-amd-amdhsa--gfx1100
amdhsa.version:
  - 1
  - 2
...

	.end_amdgpu_metadata
